;; amdgpu-corpus repo=ROCm/rocFFT kind=compiled arch=gfx1030 opt=O3
	.text
	.amdgcn_target "amdgcn-amd-amdhsa--gfx1030"
	.amdhsa_code_object_version 6
	.protected	bluestein_single_back_len1360_dim1_half_op_CI_CI ; -- Begin function bluestein_single_back_len1360_dim1_half_op_CI_CI
	.globl	bluestein_single_back_len1360_dim1_half_op_CI_CI
	.p2align	8
	.type	bluestein_single_back_len1360_dim1_half_op_CI_CI,@function
bluestein_single_back_len1360_dim1_half_op_CI_CI: ; @bluestein_single_back_len1360_dim1_half_op_CI_CI
; %bb.0:
	s_load_dwordx4 s[0:3], s[4:5], 0x28
	v_mul_u32_u24_e32 v1, 0x304, v0
	v_lshrrev_b32_e32 v1, 16, v1
	v_mad_u64_u32 v[31:32], null, s6, 3, v[1:2]
	v_mov_b32_e32 v32, 0
                                        ; kill: def $vgpr2 killed $sgpr0 killed $exec
	s_waitcnt lgkmcnt(0)
	v_cmp_gt_u64_e32 vcc_lo, s[0:1], v[31:32]
	s_and_saveexec_b32 s0, vcc_lo
	s_cbranch_execz .LBB0_23
; %bb.1:
	v_mul_hi_u32 v2, 0xaaaaaaab, v31
	v_mul_lo_u16 v1, 0x55, v1
	s_clause 0x1
	s_load_dwordx2 s[12:13], s[4:5], 0x0
	s_load_dwordx2 s[14:15], s[4:5], 0x38
	v_sub_nc_u16 v0, v0, v1
	v_lshrrev_b32_e32 v2, 1, v2
	v_and_b32_e32 v51, 0xffff, v0
	v_cmp_gt_u16_e32 vcc_lo, 0x50, v0
	v_lshl_add_u32 v2, v2, 1, v2
	v_lshlrev_b32_e32 v50, 2, v51
	v_or_b32_e32 v49, 0x280, v51
	v_sub_nc_u32_e32 v1, v31, v2
	v_or_b32_e32 v48, 0x500, v51
	v_mul_u32_u24_e32 v30, 0x550, v1
	v_lshlrev_b32_e32 v52, 2, v30
	s_and_saveexec_b32 s1, vcc_lo
	s_cbranch_execz .LBB0_3
; %bb.2:
	s_load_dwordx2 s[6:7], s[4:5], 0x18
	v_lshlrev_b32_e32 v8, 2, v49
	v_lshlrev_b32_e32 v9, 2, v48
	s_waitcnt lgkmcnt(0)
	s_load_dwordx4 s[8:11], s[6:7], 0x0
	s_clause 0x5
	global_load_dword v13, v50, s[12:13]
	global_load_dword v14, v50, s[12:13] offset:320
	global_load_dword v15, v8, s[12:13]
	global_load_dword v16, v9, s[12:13]
	global_load_dword v18, v50, s[12:13] offset:640
	global_load_dword v21, v50, s[12:13] offset:960
	s_waitcnt lgkmcnt(0)
	v_mad_u64_u32 v[0:1], null, s10, v31, 0
	v_mad_u64_u32 v[2:3], null, s8, v51, 0
	;; [unrolled: 1-line block ×4, first 2 shown]
	s_mul_i32 s0, s9, 0x140
	s_mul_hi_u32 s6, s8, 0x140
	v_mad_u64_u32 v[8:9], null, s11, v31, v[1:2]
	v_mad_u64_u32 v[9:10], null, s9, v51, v[3:4]
	v_mad_u64_u32 v[10:11], null, s9, v49, v[5:6]
	s_add_i32 s6, s6, s0
	s_mul_i32 s7, s8, 0x140
	v_mov_b32_e32 v1, v8
	v_mad_u64_u32 v[11:12], null, s9, v48, v[7:8]
	v_mov_b32_e32 v3, v9
	v_mov_b32_e32 v5, v10
	v_lshlrev_b64 v[0:1], 2, v[0:1]
	v_lshlrev_b64 v[2:3], 2, v[2:3]
	v_mov_b32_e32 v7, v11
	v_lshlrev_b64 v[4:5], 2, v[4:5]
	v_add_co_u32 v8, s0, s2, v0
	v_add_co_ci_u32_e64 v9, s0, s3, v1, s0
	v_lshlrev_b64 v[0:1], 2, v[6:7]
	v_add_co_u32 v2, s0, v8, v2
	v_add_co_ci_u32_e64 v3, s0, v9, v3, s0
	v_add_co_u32 v4, s0, v8, v4
	v_add_co_ci_u32_e64 v5, s0, v9, v5, s0
	;; [unrolled: 2-line block ×4, first 2 shown]
	s_clause 0x3
	global_load_dword v10, v[2:3], off
	global_load_dword v11, v[4:5], off
	;; [unrolled: 1-line block ×4, first 2 shown]
	v_add_co_u32 v2, s0, v6, s7
	v_add_co_ci_u32_e64 v3, s0, s6, v7, s0
	v_add_co_u32 v4, s0, v2, s7
	v_add_co_ci_u32_e64 v5, s0, s6, v3, s0
	global_load_dword v19, v[2:3], off
	v_add_co_u32 v0, s0, v4, s7
	global_load_dword v20, v[4:5], off
	v_add_co_ci_u32_e64 v1, s0, s6, v5, s0
	v_add_co_u32 v6, s0, v0, s7
	v_add_co_ci_u32_e64 v7, s0, s6, v1, s0
	v_add_co_u32 v8, s0, v6, s7
	global_load_dword v24, v[0:1], off
	v_add_co_ci_u32_e64 v9, s0, s6, v7, s0
	v_add_co_u32 v2, s0, v8, s7
	s_clause 0x1
	global_load_dword v25, v50, s[12:13] offset:1280
	global_load_dword v26, v50, s[12:13] offset:1600
	global_load_dword v27, v[6:7], off
	v_add_co_ci_u32_e64 v3, s0, s6, v9, s0
	v_add_co_u32 v22, s0, s12, v50
	v_add_co_ci_u32_e64 v23, null, s13, 0, s0
	v_mad_u64_u32 v[4:5], null, 0x280, s8, v[2:3]
	v_add_co_u32 v6, s0, 0x800, v22
	v_add_co_ci_u32_e64 v7, s0, 0, v23, s0
	global_load_dword v8, v[8:9], off
	s_clause 0x1
	global_load_dword v9, v50, s[12:13] offset:1920
	global_load_dword v28, v[6:7], off offset:192
	global_load_dword v29, v[2:3], off
	v_mov_b32_e32 v0, v5
	v_mad_u64_u32 v[0:1], null, 0x280, s9, v[0:1]
	v_mov_b32_e32 v5, v0
	v_add_co_u32 v0, s0, 0x1000, v22
	v_add_co_ci_u32_e64 v1, s0, 0, v23, s0
	v_add_co_u32 v2, s0, v4, s7
	v_add_co_ci_u32_e64 v3, s0, s6, v5, s0
	global_load_dword v22, v[4:5], off
	v_add_co_u32 v4, s0, v2, s7
	s_clause 0x3
	global_load_dword v23, v[6:7], off offset:832
	global_load_dword v32, v[6:7], off offset:1152
	;; [unrolled: 1-line block ×4, first 2 shown]
	v_add_co_ci_u32_e64 v5, s0, s6, v3, s0
	global_load_dword v7, v[2:3], off
	v_add_co_u32 v2, s0, v4, s7
	v_add_co_ci_u32_e64 v3, s0, s6, v5, s0
	global_load_dword v34, v[4:5], off
	v_add_co_u32 v4, s0, v2, s7
	;; [unrolled: 3-line block ×4, first 2 shown]
	v_add_co_ci_u32_e64 v5, s0, s6, v3, s0
	global_load_dword v37, v[0:1], off offset:64
	global_load_dword v2, v[2:3], off
	global_load_dword v3, v[4:5], off
	s_clause 0x1
	global_load_dword v4, v[0:1], off offset:384
	global_load_dword v0, v[0:1], off offset:704
	v_lshl_add_u32 v5, v51, 2, v52
	v_add_nc_u32_e32 v1, v52, v50
	v_add_nc_u32_e32 v38, 0x200, v1
	;; [unrolled: 1-line block ×7, first 2 shown]
	s_waitcnt vmcnt(27)
	v_lshrrev_b32_e32 v44, 16, v10
	v_mul_f16_sdwa v45, v13, v10 dst_sel:DWORD dst_unused:UNUSED_PAD src0_sel:WORD_1 src1_sel:DWORD
	s_waitcnt vmcnt(26)
	v_lshrrev_b32_e32 v46, 16, v11
	v_mul_f16_sdwa v47, v15, v11 dst_sel:DWORD dst_unused:UNUSED_PAD src0_sel:WORD_1 src1_sel:DWORD
	s_waitcnt vmcnt(24)
	v_lshrrev_b32_e32 v53, 16, v12
	v_mul_f16_sdwa v55, v13, v44 dst_sel:DWORD dst_unused:UNUSED_PAD src0_sel:WORD_1 src1_sel:DWORD
	v_fma_f16 v44, v13, v44, -v45
	v_lshrrev_b32_e32 v45, 16, v17
	v_mul_f16_sdwa v56, v14, v17 dst_sel:DWORD dst_unused:UNUSED_PAD src0_sel:WORD_1 src1_sel:DWORD
	v_mul_f16_sdwa v57, v15, v46 dst_sel:DWORD dst_unused:UNUSED_PAD src0_sel:WORD_1 src1_sel:DWORD
	v_fmac_f16_e32 v55, v13, v10
	v_mul_f16_sdwa v54, v16, v12 dst_sel:DWORD dst_unused:UNUSED_PAD src0_sel:WORD_1 src1_sel:DWORD
	v_mul_f16_sdwa v10, v14, v45 dst_sel:DWORD dst_unused:UNUSED_PAD src0_sel:WORD_1 src1_sel:DWORD
	v_fma_f16 v46, v15, v46, -v47
	v_mul_f16_sdwa v47, v16, v53 dst_sel:DWORD dst_unused:UNUSED_PAD src0_sel:WORD_1 src1_sel:DWORD
	v_fma_f16 v13, v14, v45, -v56
	s_waitcnt vmcnt(23)
	v_lshrrev_b32_e32 v45, 16, v19
	v_fmac_f16_e32 v57, v15, v11
	v_pack_b32_f16 v11, v55, v44
	v_fmac_f16_e32 v10, v14, v17
	s_waitcnt vmcnt(22)
	v_lshrrev_b32_e32 v15, 16, v20
	v_fma_f16 v53, v16, v53, -v54
	v_mul_f16_sdwa v54, v18, v19 dst_sel:DWORD dst_unused:UNUSED_PAD src0_sel:WORD_1 src1_sel:DWORD
	v_fmac_f16_e32 v47, v16, v12
	v_mul_f16_sdwa v12, v18, v45 dst_sel:DWORD dst_unused:UNUSED_PAD src0_sel:WORD_1 src1_sel:DWORD
	v_mul_f16_sdwa v16, v21, v20 dst_sel:DWORD dst_unused:UNUSED_PAD src0_sel:WORD_1 src1_sel:DWORD
	ds_write_b32 v5, v11
	v_pack_b32_f16 v5, v10, v13
	v_mul_f16_sdwa v10, v21, v15 dst_sel:DWORD dst_unused:UNUSED_PAD src0_sel:WORD_1 src1_sel:DWORD
	v_fma_f16 v14, v18, v45, -v54
	v_fmac_f16_e32 v12, v18, v19
	s_waitcnt vmcnt(21)
	v_lshrrev_b32_e32 v11, 16, v24
	s_waitcnt vmcnt(20)
	v_mul_f16_sdwa v13, v25, v24 dst_sel:DWORD dst_unused:UNUSED_PAD src0_sel:WORD_1 src1_sel:DWORD
	v_fma_f16 v15, v21, v15, -v16
	v_fmac_f16_e32 v10, v21, v20
	v_pack_b32_f16 v12, v12, v14
	v_mul_f16_sdwa v14, v25, v11 dst_sel:DWORD dst_unused:UNUSED_PAD src0_sel:WORD_1 src1_sel:DWORD
	v_fma_f16 v11, v25, v11, -v13
	s_waitcnt vmcnt(18)
	v_lshrrev_b32_e32 v13, 16, v27
	v_mul_f16_sdwa v16, v26, v27 dst_sel:DWORD dst_unused:UNUSED_PAD src0_sel:WORD_1 src1_sel:DWORD
	v_pack_b32_f16 v10, v10, v15
	v_fmac_f16_e32 v14, v25, v24
	v_pack_b32_f16 v17, v57, v46
	s_waitcnt vmcnt(17)
	v_lshrrev_b32_e32 v15, 16, v8
	v_mul_f16_sdwa v18, v26, v13 dst_sel:DWORD dst_unused:UNUSED_PAD src0_sel:WORD_1 src1_sel:DWORD
	s_waitcnt vmcnt(16)
	v_mul_f16_sdwa v19, v9, v8 dst_sel:DWORD dst_unused:UNUSED_PAD src0_sel:WORD_1 src1_sel:DWORD
	v_fma_f16 v13, v26, v13, -v16
	s_waitcnt vmcnt(14)
	v_lshrrev_b32_e32 v20, 16, v29
	v_mul_f16_sdwa v16, v9, v15 dst_sel:DWORD dst_unused:UNUSED_PAD src0_sel:WORD_1 src1_sel:DWORD
	v_fmac_f16_e32 v18, v26, v27
	v_fma_f16 v15, v9, v15, -v19
	v_mul_f16_sdwa v19, v28, v29 dst_sel:DWORD dst_unused:UNUSED_PAD src0_sel:WORD_1 src1_sel:DWORD
	ds_write2_b32 v1, v5, v12 offset0:80 offset1:160
	v_fmac_f16_e32 v16, v9, v8
	v_mul_f16_sdwa v8, v28, v20 dst_sel:DWORD dst_unused:UNUSED_PAD src0_sel:WORD_1 src1_sel:DWORD
	v_pack_b32_f16 v9, v14, v11
	v_pack_b32_f16 v11, v18, v13
	v_fma_f16 v13, v28, v20, -v19
	v_pack_b32_f16 v14, v16, v15
	v_fmac_f16_e32 v8, v28, v29
	ds_write2_b32 v38, v10, v9 offset0:112 offset1:192
	ds_write2_b32 v39, v11, v14 offset0:144 offset1:224
	v_pack_b32_f16 v44, v47, v53
	v_pack_b32_f16 v8, v8, v13
	v_add_nc_u32_e32 v1, 0x1200, v1
	s_waitcnt vmcnt(13)
	v_lshrrev_b32_e32 v5, 16, v22
	s_waitcnt vmcnt(12)
	v_mul_f16_sdwa v9, v23, v22 dst_sel:DWORD dst_unused:UNUSED_PAD src0_sel:WORD_1 src1_sel:DWORD
	ds_write2_b32 v40, v8, v17 offset0:48 offset1:128
	v_mul_f16_sdwa v10, v23, v5 dst_sel:DWORD dst_unused:UNUSED_PAD src0_sel:WORD_1 src1_sel:DWORD
	s_waitcnt vmcnt(8)
	v_lshrrev_b32_e32 v11, 16, v7
	v_mul_f16_sdwa v12, v32, v7 dst_sel:DWORD dst_unused:UNUSED_PAD src0_sel:WORD_1 src1_sel:DWORD
	v_fma_f16 v5, v23, v5, -v9
	v_fmac_f16_e32 v10, v23, v22
	v_mul_f16_sdwa v8, v32, v11 dst_sel:DWORD dst_unused:UNUSED_PAD src0_sel:WORD_1 src1_sel:DWORD
	v_fma_f16 v9, v32, v11, -v12
	s_waitcnt vmcnt(7)
	v_lshrrev_b32_e32 v11, 16, v34
	v_mul_f16_sdwa v12, v33, v34 dst_sel:DWORD dst_unused:UNUSED_PAD src0_sel:WORD_1 src1_sel:DWORD
	v_pack_b32_f16 v5, v10, v5
	v_fmac_f16_e32 v8, v32, v7
	s_waitcnt vmcnt(6)
	v_lshrrev_b32_e32 v7, 16, v35
	v_mul_f16_sdwa v10, v33, v11 dst_sel:DWORD dst_unused:UNUSED_PAD src0_sel:WORD_1 src1_sel:DWORD
	v_fma_f16 v11, v33, v11, -v12
	v_mul_f16_sdwa v12, v6, v35 dst_sel:DWORD dst_unused:UNUSED_PAD src0_sel:WORD_1 src1_sel:DWORD
	v_pack_b32_f16 v8, v8, v9
	v_mul_f16_sdwa v9, v6, v7 dst_sel:DWORD dst_unused:UNUSED_PAD src0_sel:WORD_1 src1_sel:DWORD
	s_waitcnt vmcnt(5)
	v_lshrrev_b32_e32 v13, 16, v36
	v_fmac_f16_e32 v10, v33, v34
	v_fma_f16 v7, v6, v7, -v12
	s_waitcnt vmcnt(4)
	v_mul_f16_sdwa v12, v37, v36 dst_sel:DWORD dst_unused:UNUSED_PAD src0_sel:WORD_1 src1_sel:DWORD
	v_fmac_f16_e32 v9, v6, v35
	s_waitcnt vmcnt(3)
	v_lshrrev_b32_e32 v6, 16, v2
	s_waitcnt vmcnt(2)
	v_lshrrev_b32_e32 v15, 16, v3
	v_mul_f16_sdwa v14, v37, v13 dst_sel:DWORD dst_unused:UNUSED_PAD src0_sel:WORD_1 src1_sel:DWORD
	v_fma_f16 v12, v37, v13, -v12
	s_waitcnt vmcnt(1)
	v_mul_f16_sdwa v13, v4, v2 dst_sel:DWORD dst_unused:UNUSED_PAD src0_sel:WORD_1 src1_sel:DWORD
	v_mul_f16_sdwa v16, v4, v6 dst_sel:DWORD dst_unused:UNUSED_PAD src0_sel:WORD_1 src1_sel:DWORD
	s_waitcnt vmcnt(0)
	v_mul_f16_sdwa v17, v0, v3 dst_sel:DWORD dst_unused:UNUSED_PAD src0_sel:WORD_1 src1_sel:DWORD
	v_mul_f16_sdwa v18, v0, v15 dst_sel:DWORD dst_unused:UNUSED_PAD src0_sel:WORD_1 src1_sel:DWORD
	v_fmac_f16_e32 v14, v37, v36
	v_fma_f16 v6, v4, v6, -v13
	v_fmac_f16_e32 v16, v4, v2
	v_fma_f16 v2, v0, v15, -v17
	v_fmac_f16_e32 v18, v0, v3
	v_pack_b32_f16 v0, v10, v11
	v_pack_b32_f16 v3, v9, v7
	;; [unrolled: 1-line block ×5, first 2 shown]
	ds_write2_b32 v41, v5, v8 offset0:80 offset1:160
	ds_write2_b32 v42, v0, v3 offset0:112 offset1:192
	;; [unrolled: 1-line block ×4, first 2 shown]
.LBB0_3:
	s_or_b32 exec_lo, exec_lo, s1
	v_mov_b32_e32 v10, 0
                                        ; kill: def $vgpr0 killed $sgpr0 killed $exec
	s_waitcnt lgkmcnt(0)
	s_barrier
	buffer_gl0_inv
                                        ; implicit-def: $vgpr16
                                        ; implicit-def: $vgpr1
                                        ; implicit-def: $vgpr3
                                        ; implicit-def: $vgpr5
                                        ; implicit-def: $vgpr7
                                        ; implicit-def: $vgpr9
                                        ; implicit-def: $vgpr13
                                        ; implicit-def: $vgpr15
                                        ; implicit-def: $vgpr92
	s_and_saveexec_b32 s0, vcc_lo
	s_cbranch_execz .LBB0_5
; %bb.4:
	v_lshl_add_u32 v16, v30, 2, v50
	ds_read2_b32 v[10:11], v16 offset1:80
	ds_read2_b32 v[14:15], v16 offset0:160 offset1:240
	v_add_nc_u32_e32 v0, 0x400, v16
	v_add_nc_u32_e32 v1, 0x600, v16
	;; [unrolled: 1-line block ×6, first 2 shown]
	ds_read2_b32 v[12:13], v0 offset0:64 offset1:144
	ds_read2_b32 v[8:9], v1 offset0:96 offset1:176
	;; [unrolled: 1-line block ×6, first 2 shown]
	ds_read_b32 v16, v16 offset:5120
	s_waitcnt lgkmcnt(7)
	v_alignbit_b32 v92, v14, v14, 16
.LBB0_5:
	s_or_b32 exec_lo, exec_lo, s0
	s_waitcnt lgkmcnt(0)
	v_pk_add_f16 v14, v11, v16 neg_lo:[0,1] neg_hi:[0,1]
	v_mov_b32_e32 v81, 0xb5c8
	v_pk_add_f16 v19, v16, v11
	v_pk_add_f16 v17, v1, v92 op_sel:[1,0] op_sel_hi:[0,1]
	v_pk_add_f16 v22, v92, v1 op_sel:[1,0] op_sel_hi:[0,1] neg_lo:[0,1] neg_hi:[0,1]
	v_mov_b32_e32 v84, 0xb964
	v_mul_f16_sdwa v90, v14, v81 dst_sel:DWORD dst_unused:UNUSED_PAD src0_sel:WORD_1 src1_sel:DWORD
	v_lshrrev_b32_e32 v89, 16, v19
	v_mul_f16_e32 v91, 0xb964, v14
	v_lshrrev_b32_e32 v39, 16, v17
	v_mul_f16_sdwa v36, v22, v84 dst_sel:DWORD dst_unused:UNUSED_PAD src0_sel:WORD_1 src1_sel:DWORD
	v_fmamk_f16 v20, v19, 0x3b76, v90
	v_pk_add_f16 v18, v15, v0 neg_lo:[0,1] neg_hi:[0,1]
	v_fma_f16 v21, v89, 0x39e9, -v91
	v_mov_b32_e32 v86, 0xbb29
	v_fmamk_f16 v24, v39, 0x39e9, v36
	v_add_f16_e32 v23, v20, v10
	v_mul_f16_e32 v44, 0xbbf7, v22
	v_add_f16_sdwa v25, v21, v10 dst_sel:DWORD dst_unused:UNUSED_PAD src0_sel:DWORD src1_sel:WORD_1
	v_pk_add_f16 v20, v0, v15
	v_mul_f16_sdwa v38, v18, v86 dst_sel:DWORD dst_unused:UNUSED_PAD src0_sel:WORD_1 src1_sel:DWORD
	v_pk_add_f16 v21, v12, v3 neg_lo:[0,1] neg_hi:[0,1]
	v_mov_b32_e32 v83, 0xbbf7
	v_add_f16_e32 v24, v24, v23
	v_fma_f16 v26, v17, 0x2de8, -v44
	v_fmamk_f16 v27, v20, 0x3722, v38
	v_lshrrev_b32_e32 v53, 16, v20
	v_mul_f16_e32 v46, 0xba62, v18
	v_pk_add_f16 v23, v3, v12
	v_mul_f16_sdwa v40, v21, v83 dst_sel:DWORD dst_unused:UNUSED_PAD src0_sel:WORD_1 src1_sel:DWORD
	v_add_f16_e32 v26, v26, v25
	v_add_f16_e32 v27, v27, v24
	v_fma_f16 v28, v53, 0xb8d2, -v46
	v_lshrrev_b32_e32 v54, 16, v23
	v_fmamk_f16 v29, v23, 0x2de8, v40
	v_mul_f16_e32 v47, 0xb1e1, v21
	v_pk_add_f16 v24, v13, v2 neg_lo:[0,1] neg_hi:[0,1]
	v_mov_b32_e32 v82, 0xbbb2
	v_pk_add_f16 v25, v2, v13
	v_add_f16_e32 v28, v28, v26
	v_add_f16_e32 v29, v29, v27
	v_fma_f16 v32, v54, 0xbbdd, -v47
	v_mul_f16_sdwa v42, v24, v82 dst_sel:DWORD dst_unused:UNUSED_PAD src0_sel:WORD_1 src1_sel:DWORD
	v_lshrrev_b32_e32 v56, 16, v25
	v_mul_f16_e32 v55, 0x3836, v24
	v_pk_add_f16 v26, v8, v5 neg_lo:[0,1] neg_hi:[0,1]
	v_mov_b32_e32 v88, 0xba62
	v_pk_add_f16 v27, v5, v8
	v_add_f16_e32 v32, v32, v28
	v_fmamk_f16 v33, v25, 0xb461, v42
	v_fma_f16 v34, v56, 0xbacd, -v55
	v_mul_f16_sdwa v43, v26, v88 dst_sel:DWORD dst_unused:UNUSED_PAD src0_sel:WORD_1 src1_sel:DWORD
	v_lshrrev_b32_e32 v57, 16, v27
	v_pk_add_f16 v28, v9, v4 neg_lo:[0,1] neg_hi:[0,1]
	v_mov_b32_e32 v87, 0xb836
	v_mul_f16_e32 v58, 0x3bb2, v26
	v_add_f16_e32 v33, v33, v29
	v_fmamk_f16 v35, v27, 0xb8d2, v43
	v_pk_add_f16 v29, v4, v9
	v_mul_f16_sdwa v45, v28, v87 dst_sel:DWORD dst_unused:UNUSED_PAD src0_sel:WORD_1 src1_sel:DWORD
	v_add_f16_e32 v32, v34, v32
	v_fma_f16 v34, v57, 0xb461, -v58
	v_add_f16_e32 v33, v35, v33
	v_pk_mul_f16 v68, 0x3722b8d2, v20
	v_fmamk_f16 v35, v29, 0xbacd, v45
	v_pk_mul_f16 v70, 0x2de8bbdd, v23
	v_add_f16_e32 v32, v34, v32
	v_pk_mul_f16 v34, 0x3b7639e9, v19
	v_pk_mul_f16 v72, 0xb461bacd, v25
	v_add_f16_e32 v33, v35, v33
	v_pk_mul_f16 v35, 0xbbf7b964, v22
	v_pk_fma_f16 v69, 0xb1e1bbf7, v21, v70 op_sel:[0,0,1] op_sel_hi:[1,1,0] neg_lo:[0,1,0] neg_hi:[0,1,0]
	v_pk_fma_f16 v62, 0xb964b5c8, v14, v34 op_sel:[0,0,1] op_sel_hi:[1,1,0] neg_lo:[0,1,0] neg_hi:[0,1,0]
	v_pk_fma_f16 v66, 0xb964b5c8, v14, v34 op_sel:[0,0,1] op_sel_hi:[1,1,0]
	v_pk_fma_f16 v71, 0xb1e1bbf7, v21, v70 op_sel:[0,0,1] op_sel_hi:[1,1,0]
	v_pk_fma_f16 v63, 0x2de839e9, v17, v35 neg_lo:[0,0,1] neg_hi:[0,0,1]
	v_pk_fma_f16 v67, 0x2de839e9, v17, v35
	v_add_f16_sdwa v65, v62, v10 dst_sel:DWORD dst_unused:UNUSED_PAD src0_sel:DWORD src1_sel:WORD_1
	v_add_f16_sdwa v35, v66, v10 dst_sel:DWORD dst_unused:UNUSED_PAD src0_sel:WORD_1 src1_sel:DWORD
	v_pk_fma_f16 v70, 0x3836bbb2, v24, v72 op_sel:[0,0,1] op_sel_hi:[1,1,0] neg_lo:[0,1,0] neg_hi:[0,1,0]
	v_pk_mul_f16 v74, 0xb8d2b461, v27
	v_pk_fma_f16 v72, 0x3836bbb2, v24, v72 op_sel:[0,0,1] op_sel_hi:[1,1,0]
	v_add_f16_e32 v34, v63, v65
	v_pk_fma_f16 v65, 0xba62bb29, v18, v68 op_sel:[0,0,1] op_sel_hi:[1,1,0] neg_lo:[0,1,0] neg_hi:[0,1,0]
	v_pk_fma_f16 v68, 0xba62bb29, v18, v68 op_sel:[0,0,1] op_sel_hi:[1,1,0]
	v_add_f16_sdwa v35, v67, v35 dst_sel:DWORD dst_unused:UNUSED_PAD src0_sel:WORD_1 src1_sel:DWORD
	v_lshrrev_b32_e32 v60, 16, v29
	v_mul_f16_e32 v64, 0x3b29, v28
	v_add_f16_e32 v34, v65, v34
	v_pk_add_f16 v37, v6, v7 neg_lo:[0,1] neg_hi:[0,1]
	v_add_f16_sdwa v35, v68, v35 dst_sel:DWORD dst_unused:UNUSED_PAD src0_sel:WORD_1 src1_sel:DWORD
	v_mov_b32_e32 v85, 0xb1e1
	v_pk_add_f16 v41, v7, v6
	v_add_f16_e32 v34, v69, v34
	v_pk_fma_f16 v73, 0x3bb2ba62, v26, v74 op_sel:[0,0,1] op_sel_hi:[1,1,0] neg_lo:[0,1,0] neg_hi:[0,1,0]
	v_add_f16_sdwa v35, v71, v35 dst_sel:DWORD dst_unused:UNUSED_PAD src0_sel:WORD_1 src1_sel:DWORD
	v_pk_mul_f16 v76, 0xbacd3722, v29
	s_clause 0x1
	s_load_dwordx2 s[6:7], s[4:5], 0x20
	s_load_dwordx2 s[2:3], s[4:5], 0x8
	v_add_f16_e32 v34, v70, v34
	v_pk_fma_f16 v74, 0x3bb2ba62, v26, v74 op_sel:[0,0,1] op_sel_hi:[1,1,0]
	v_add_f16_sdwa v35, v72, v35 dst_sel:DWORD dst_unused:UNUSED_PAD src0_sel:WORD_1 src1_sel:DWORD
	v_fma_f16 v61, v60, 0x3722, -v64
	v_mul_f16_sdwa v59, v37, v85 dst_sel:DWORD dst_unused:UNUSED_PAD src0_sel:WORD_1 src1_sel:DWORD
	v_lshrrev_b32_e32 v79, 16, v41
	v_mul_f16_e32 v78, 0x35c8, v37
	v_add_f16_e32 v34, v73, v34
	v_pk_fma_f16 v75, 0x3b29b836, v28, v76 op_sel:[0,0,1] op_sel_hi:[1,1,0] neg_lo:[0,1,0] neg_hi:[0,1,0]
	v_pk_mul_f16 v77, 0xbbdd3b76, v41
	v_pk_fma_f16 v80, 0x3b29b836, v28, v76 op_sel:[0,0,1] op_sel_hi:[1,1,0]
	v_add_f16_sdwa v35, v74, v35 dst_sel:DWORD dst_unused:UNUSED_PAD src0_sel:WORD_1 src1_sel:DWORD
	v_add_f16_e32 v32, v61, v32
	v_fmamk_f16 v61, v41, 0xbbdd, v59
	v_fma_f16 v93, v79, 0x3b76, -v78
	v_add_f16_e32 v94, v75, v34
	v_pk_fma_f16 v76, 0x35c8b1e1, v37, v77 op_sel:[0,0,1] op_sel_hi:[1,1,0] neg_lo:[0,1,0] neg_hi:[0,1,0]
	v_pk_fma_f16 v77, 0x35c8b1e1, v37, v77 op_sel:[0,0,1] op_sel_hi:[1,1,0]
	v_add_f16_sdwa v95, v80, v35 dst_sel:DWORD dst_unused:UNUSED_PAD src0_sel:WORD_1 src1_sel:DWORD
	v_add_f16_e32 v33, v61, v33
	v_add_f16_e32 v34, v93, v32
	;; [unrolled: 1-line block ×3, first 2 shown]
	s_waitcnt lgkmcnt(0)
	v_add_f16_sdwa v32, v77, v95 dst_sel:DWORD dst_unused:UNUSED_PAD src0_sel:WORD_1 src1_sel:DWORD
	s_barrier
	buffer_gl0_inv
	s_and_saveexec_b32 s0, vcc_lo
	s_cbranch_execz .LBB0_7
; %bb.6:
	v_alignbit_b32 v61, v10, v10, 16
	v_alignbit_b32 v92, v92, v92, 16
	v_mul_f16_e32 v98, 0x2de8, v89
	v_mul_f16_e32 v95, 0x3b76, v19
	v_mul_f16_sdwa v99, v14, v83 dst_sel:DWORD dst_unused:UNUSED_PAD src0_sel:WORD_1 src1_sel:DWORD
	v_pk_add_f16 v11, v11, v61 op_sel:[0,1] op_sel_hi:[1,0]
	v_mul_f16_e32 v93, 0x39e9, v89
	v_mul_f16_sdwa v97, v14, v86 dst_sel:DWORD dst_unused:UNUSED_PAD src0_sel:WORD_1 src1_sel:DWORD
	v_sub_f16_e32 v103, v95, v90
	v_fmamk_f16 v90, v19, 0x2de8, v99
	v_pk_add_f16 v11, v92, v11
	v_mul_f16_e32 v94, 0x3722, v89
	v_mul_f16_e32 v100, 0xb461, v89
	v_add_f16_e32 v102, v91, v93
	v_fmamk_f16 v91, v19, 0x3722, v97
	v_pk_add_f16 v11, v15, v11
	v_fmamk_f16 v15, v14, 0x3bf7, v98
	v_add_f16_e32 v106, v90, v10
	v_mul_f16_e32 v90, 0xb8d2, v89
	v_mul_f16_e32 v89, 0xbacd, v89
	v_fmamk_f16 v92, v14, 0x3b29, v94
	v_add_f16_sdwa v105, v15, v10 dst_sel:DWORD dst_unused:UNUSED_PAD src0_sel:DWORD src1_sel:WORD_1
	v_mul_f16_sdwa v15, v14, v82 dst_sel:DWORD dst_unused:UNUSED_PAD src0_sel:WORD_1 src1_sel:DWORD
	v_add_f16_e32 v104, v91, v10
	v_mul_f16_sdwa v91, v14, v88 dst_sel:DWORD dst_unused:UNUSED_PAD src0_sel:WORD_1 src1_sel:DWORD
	v_fmamk_f16 v96, v14, 0x3a62, v90
	v_fmamk_f16 v108, v14, 0x3836, v89
	;; [unrolled: 1-line block ×3, first 2 shown]
	v_fmac_f16_e32 v89, 0xb836, v14
	v_fmamk_f16 v93, v14, 0x3bb2, v100
	v_add_f16_sdwa v92, v92, v10 dst_sel:DWORD dst_unused:UNUSED_PAD src0_sel:DWORD src1_sel:WORD_1
	v_fmamk_f16 v101, v19, 0xb8d2, v91
	v_add_f16_e32 v110, v95, v10
	v_mul_f16_e32 v95, 0xb8d2, v17
	v_add_f16_sdwa v111, v96, v10 dst_sel:DWORD dst_unused:UNUSED_PAD src0_sel:DWORD src1_sel:WORD_1
	v_fmac_f16_e32 v90, 0xba62, v14
	v_fma_f16 v91, v19, 0xb8d2, -v91
	v_add_f16_sdwa v113, v89, v10 dst_sel:DWORD dst_unused:UNUSED_PAD src0_sel:DWORD src1_sel:WORD_1
	v_fmamk_f16 v89, v22, 0x3a62, v95
	v_mul_f16_e32 v96, 0xbbdd, v53
	v_add_f16_sdwa v107, v93, v10 dst_sel:DWORD dst_unused:UNUSED_PAD src0_sel:DWORD src1_sel:WORD_1
	v_mul_f16_sdwa v93, v14, v87 dst_sel:DWORD dst_unused:UNUSED_PAD src0_sel:WORD_1 src1_sel:DWORD
	v_add_f16_sdwa v115, v90, v10 dst_sel:DWORD dst_unused:UNUSED_PAD src0_sel:DWORD src1_sel:WORD_1
	v_add_f16_e32 v116, v91, v10
	v_add_f16_e32 v89, v89, v92
	v_fmamk_f16 v91, v18, 0xb1e1, v96
	v_mul_f16_e32 v90, 0xb461, v54
	v_fmamk_f16 v109, v19, 0xbacd, v93
	v_fma_f16 v93, v19, 0xbacd, -v93
	v_fma_f16 v15, v19, 0xb461, -v15
	v_add_f16_e32 v89, v91, v89
	v_fmamk_f16 v91, v21, 0xbbb2, v90
	v_mul_f16_e32 v92, 0x39e9, v56
	v_add_f16_e32 v114, v93, v10
	v_fmac_f16_e32 v98, 0xbbf7, v14
	v_fmac_f16_e32 v94, 0xbb29, v14
	v_fma_f16 v97, v19, 0x3722, -v97
	v_add_f16_e32 v118, v15, v10
	v_add_f16_e32 v15, v91, v89
	v_fmamk_f16 v89, v24, 0xb964, v92
	v_mul_f16_e32 v93, 0x3b76, v57
	v_add_f16_e32 v112, v101, v10
	v_fmac_f16_e32 v100, 0xbbb2, v14
	v_fma_f16 v99, v19, 0x2de8, -v99
	v_add_f16_sdwa v119, v98, v10 dst_sel:DWORD dst_unused:UNUSED_PAD src0_sel:DWORD src1_sel:WORD_1
	v_add_f16_sdwa v101, v94, v10 dst_sel:DWORD dst_unused:UNUSED_PAD src0_sel:DWORD src1_sel:WORD_1
	v_add_f16_e32 v98, v97, v10
	v_add_f16_e32 v94, v89, v15
	v_fmamk_f16 v97, v26, 0x35c8, v93
	v_mul_f16_e32 v91, 0x2de8, v60
	v_add_f16_sdwa v108, v108, v10 dst_sel:DWORD dst_unused:UNUSED_PAD src0_sel:DWORD src1_sel:WORD_1
	v_add_f16_e32 v109, v109, v10
	v_add_f16_sdwa v117, v100, v10 dst_sel:DWORD dst_unused:UNUSED_PAD src0_sel:DWORD src1_sel:WORD_1
	v_add_f16_e32 v120, v99, v10
	;; [unrolled: 2-line block ×3, first 2 shown]
	v_pk_add_f16 v10, v12, v11
	v_add_f16_e32 v11, v97, v94
	v_fmamk_f16 v12, v28, 0x3bf7, v91
	v_mul_f16_sdwa v99, v22, v88 dst_sel:DWORD dst_unused:UNUSED_PAD src0_sel:WORD_1 src1_sel:DWORD
	v_mov_b32_e32 v97, 0x31e1
	v_pk_add_f16 v13, v13, v10
	v_mov_b32_e32 v121, 0x3bb2
	v_add_f16_e32 v10, v12, v11
	v_fmamk_f16 v11, v39, 0xb8d2, v99
	v_mul_f16_sdwa v100, v18, v97 dst_sel:DWORD dst_unused:UNUSED_PAD src0_sel:WORD_1 src1_sel:DWORD
	v_mul_f16_e32 v122, 0xbbdd, v17
	v_mul_f16_sdwa v123, v21, v121 dst_sel:DWORD dst_unused:UNUSED_PAD src0_sel:WORD_1 src1_sel:DWORD
	v_mov_b32_e32 v124, 0x3964
	v_add_f16_e32 v11, v11, v104
	v_fmamk_f16 v97, v20, 0xbbdd, v100
	v_fmamk_f16 v102, v22, 0x31e1, v122
	v_mul_f16_e32 v125, 0xb461, v53
	v_mul_f16_sdwa v126, v24, v124 dst_sel:DWORD dst_unused:UNUSED_PAD src0_sel:WORD_1 src1_sel:DWORD
	v_mul_f16_e32 v94, 0xbacd, v79
	v_add_f16_e32 v11, v97, v11
	v_fmamk_f16 v97, v23, 0xb461, v123
	v_add_f16_e32 v102, v102, v105
	v_fmamk_f16 v103, v18, 0xbbb2, v125
	v_mul_f16_e32 v105, 0x3b76, v54
	v_mul_f16_sdwa v104, v26, v81 dst_sel:DWORD dst_unused:UNUSED_PAD src0_sel:WORD_1 src1_sel:DWORD
	v_add_f16_e32 v11, v97, v11
	v_fmamk_f16 v97, v25, 0x39e9, v126
	v_add_f16_e32 v102, v103, v102
	v_fmamk_f16 v127, v21, 0xb5c8, v105
	v_mul_f16_e32 v128, 0x3722, v56
	v_fmamk_f16 v12, v37, 0x3836, v94
	v_add_f16_e32 v11, v97, v11
	v_fmamk_f16 v97, v27, 0x3b76, v104
	v_mul_f16_sdwa v103, v28, v83 dst_sel:DWORD dst_unused:UNUSED_PAD src0_sel:WORD_1 src1_sel:DWORD
	v_add_f16_e32 v102, v127, v102
	v_fmamk_f16 v127, v24, 0x3b29, v128
	v_mul_f16_e32 v129, 0xbacd, v57
	v_add_f16_e32 v11, v97, v11
	v_fmamk_f16 v97, v29, 0x2de8, v103
	v_add_f16_e32 v10, v12, v10
	v_add_f16_e32 v12, v127, v102
	v_fmamk_f16 v127, v26, 0x3836, v129
	v_mul_f16_sdwa v130, v22, v85 dst_sel:DWORD dst_unused:UNUSED_PAD src0_sel:WORD_1 src1_sel:DWORD
	v_add_f16_e32 v11, v97, v11
	v_mul_f16_e32 v131, 0xb8d2, v60
	v_mov_b32_e32 v132, 0x35c8
	v_add_f16_e32 v12, v127, v12
	v_fmamk_f16 v97, v39, 0xbbdd, v130
	v_mul_f16_sdwa v127, v18, v121 dst_sel:DWORD dst_unused:UNUSED_PAD src0_sel:WORD_1 src1_sel:DWORD
	v_mul_f16_sdwa v102, v37, v87 dst_sel:DWORD dst_unused:UNUSED_PAD src0_sel:WORD_1 src1_sel:DWORD
	v_fmamk_f16 v133, v28, 0xba62, v131
	v_mul_f16_e32 v134, 0x39e9, v79
	v_add_f16_e32 v97, v97, v106
	v_fmamk_f16 v106, v20, 0xb461, v127
	v_mul_f16_sdwa v132, v21, v132 dst_sel:DWORD dst_unused:UNUSED_PAD src0_sel:WORD_1 src1_sel:DWORD
	v_fmamk_f16 v135, v41, 0xbacd, v102
	v_add_f16_e32 v12, v133, v12
	v_fmamk_f16 v133, v37, 0xb964, v134
	v_add_f16_e32 v97, v106, v97
	v_fmamk_f16 v106, v23, 0x3b76, v132
	v_mul_f16_e32 v136, 0xbacd, v17
	v_add_f16_e32 v11, v135, v11
	v_mul_f16_sdwa v135, v24, v86 dst_sel:DWORD dst_unused:UNUSED_PAD src0_sel:WORD_1 src1_sel:DWORD
	v_add_f16_e32 v12, v133, v12
	v_add_f16_e32 v97, v106, v97
	v_fmamk_f16 v106, v22, 0xb836, v136
	v_mul_f16_e32 v133, 0x39e9, v53
	v_fmamk_f16 v137, v25, 0x3722, v135
	v_mul_f16_sdwa v138, v26, v87 dst_sel:DWORD dst_unused:UNUSED_PAD src0_sel:WORD_1 src1_sel:DWORD
	v_mov_b32_e32 v139, 0x3a62
	v_add_f16_e32 v106, v106, v107
	v_fmamk_f16 v107, v18, 0xb964, v133
	v_mul_f16_e32 v140, 0x3722, v54
	v_add_f16_e32 v97, v137, v97
	v_fmamk_f16 v137, v27, 0xbacd, v138
	v_mul_f16_sdwa v141, v28, v139 dst_sel:DWORD dst_unused:UNUSED_PAD src0_sel:WORD_1 src1_sel:DWORD
	v_add_f16_e32 v106, v107, v106
	v_fmamk_f16 v107, v21, 0x3b29, v140
	v_mul_f16_e32 v142, 0xbbdd, v56
	v_add_f16_e32 v97, v137, v97
	v_fmamk_f16 v137, v29, 0xb8d2, v141
	v_mov_b32_e32 v143, 0x3836
	v_add_f16_e32 v106, v107, v106
	v_fmamk_f16 v107, v24, 0x31e1, v142
	v_mul_f16_e32 v144, 0x2de8, v57
	v_add_f16_e32 v97, v137, v97
	v_mul_f16_sdwa v137, v22, v143 dst_sel:DWORD dst_unused:UNUSED_PAD src0_sel:WORD_1 src1_sel:DWORD
	v_mul_f16_sdwa v143, v37, v124 dst_sel:DWORD dst_unused:UNUSED_PAD src0_sel:WORD_1 src1_sel:DWORD
	v_add_f16_e32 v106, v107, v106
	v_fmamk_f16 v107, v26, 0xbbf7, v144
	v_mul_f16_e32 v145, 0x3b76, v60
	v_mul_f16_sdwa v149, v21, v86 dst_sel:DWORD dst_unused:UNUSED_PAD src0_sel:WORD_1 src1_sel:DWORD
	v_fmamk_f16 v148, v41, 0x39e9, v143
	v_mul_f16_e32 v151, 0xb461, v17
	v_add_f16_e32 v106, v107, v106
	v_fmamk_f16 v107, v28, 0x35c8, v145
	v_mul_f16_e32 v153, 0x3b76, v53
	v_add_f16_e32 v86, v148, v97
	v_fmamk_f16 v146, v39, 0xbacd, v137
	v_mul_f16_sdwa v147, v18, v124 dst_sel:DWORD dst_unused:UNUSED_PAD src0_sel:WORD_1 src1_sel:DWORD
	v_add_f16_e32 v97, v107, v106
	v_mul_f16_e32 v106, 0xb8d2, v79
	v_mul_f16_e32 v155, 0xbacd, v54
	v_add_f16_e32 v110, v146, v110
	v_fmamk_f16 v146, v20, 0x39e9, v147
	v_mul_f16_sdwa v156, v37, v88 dst_sel:DWORD dst_unused:UNUSED_PAD src0_sel:WORD_1 src1_sel:DWORD
	v_fmamk_f16 v150, v37, 0x3a62, v106
	v_mov_b32_e32 v148, 0x3bf7
	v_mul_f16_e32 v158, 0x39e9, v57
	v_add_f16_e32 v107, v146, v110
	v_fmamk_f16 v110, v23, 0x3722, v149
	v_add_f16_e32 v97, v150, v97
	v_fmamk_f16 v150, v22, 0xbbb2, v151
	v_mul_f16_sdwa v146, v24, v85 dst_sel:DWORD dst_unused:UNUSED_PAD src0_sel:WORD_1 src1_sel:DWORD
	v_mul_f16_sdwa v152, v26, v148 dst_sel:DWORD dst_unused:UNUSED_PAD src0_sel:WORD_1 src1_sel:DWORD
	v_add_f16_e32 v107, v110, v107
	v_mul_f16_e32 v159, 0xbbdd, v60
	v_add_f16_e32 v111, v150, v111
	v_fmamk_f16 v150, v18, 0x35c8, v153
	v_fmamk_f16 v110, v25, 0xbbdd, v146
	v_mul_f16_sdwa v154, v28, v81 dst_sel:DWORD dst_unused:UNUSED_PAD src0_sel:WORD_1 src1_sel:DWORD
	v_mul_f16_e32 v160, 0x3722, v79
	v_mul_f16_e32 v161, 0x3722, v17
	v_add_f16_e32 v88, v150, v111
	v_fmamk_f16 v111, v21, 0x3836, v155
	v_mul_f16_e32 v150, 0x2de8, v56
	v_add_f16_e32 v107, v110, v107
	v_fmamk_f16 v110, v27, 0x2de8, v152
	v_mul_f16_sdwa v121, v22, v121 dst_sel:DWORD dst_unused:UNUSED_PAD src0_sel:WORD_1 src1_sel:DWORD
	v_add_f16_e32 v111, v111, v88
	v_fmamk_f16 v157, v24, 0xbbf7, v150
	v_mul_f16_e32 v162, 0x2de8, v53
	v_add_f16_e32 v107, v110, v107
	v_fmamk_f16 v110, v29, 0x3b76, v154
	v_mul_f16_e32 v164, 0xb8d2, v54
	v_add_f16_e32 v111, v157, v111
	v_fmamk_f16 v157, v26, 0x3964, v158
	v_mul_f16_sdwa v87, v21, v87 dst_sel:DWORD dst_unused:UNUSED_PAD src0_sel:WORD_1 src1_sel:DWORD
	v_add_f16_e32 v107, v110, v107
	v_fmamk_f16 v110, v41, 0xb8d2, v156
	v_mul_f16_e32 v166, 0x3b76, v56
	v_add_f16_e32 v111, v157, v111
	v_fmamk_f16 v157, v28, 0x31e1, v159
	v_mul_f16_sdwa v148, v24, v148 dst_sel:DWORD dst_unused:UNUSED_PAD src0_sel:WORD_1 src1_sel:DWORD
	v_add_f16_e32 v88, v110, v107
	v_fmamk_f16 v107, v39, 0xb461, v121
	v_mul_f16_sdwa v110, v18, v81 dst_sel:DWORD dst_unused:UNUSED_PAD src0_sel:WORD_1 src1_sel:DWORD
	v_add_f16_e32 v111, v157, v111
	v_fmamk_f16 v157, v37, 0xbb29, v160
	v_mul_f16_e32 v167, 0xbbdd, v57
	v_add_f16_e32 v107, v107, v112
	v_fmamk_f16 v112, v20, 0x3b76, v110
	v_mul_f16_sdwa v84, v26, v84 dst_sel:DWORD dst_unused:UNUSED_PAD src0_sel:WORD_1 src1_sel:DWORD
	v_add_f16_e32 v111, v157, v111
	v_fmamk_f16 v157, v22, 0xbb29, v161
	v_mul_f16_e32 v170, 0x39e9, v60
	v_add_f16_e32 v107, v112, v107
	v_fmamk_f16 v112, v23, 0xbacd, v87
	v_mul_f16_sdwa v163, v28, v85 dst_sel:DWORD dst_unused:UNUSED_PAD src0_sel:WORD_1 src1_sel:DWORD
	v_add_f16_e32 v108, v157, v108
	v_fmamk_f16 v157, v18, 0x3bf7, v162
	v_mov_b32_e32 v165, 0x3b29
	v_add_f16_e32 v107, v112, v107
	v_fmamk_f16 v112, v25, 0x2de8, v148
	v_fmac_f16_e32 v161, 0x3b29, v22
	v_add_f16_e32 v108, v157, v108
	v_fmamk_f16 v157, v21, 0xba62, v164
	v_mul_f16_sdwa v83, v18, v83 dst_sel:DWORD dst_unused:UNUSED_PAD src0_sel:WORD_1 src1_sel:DWORD
	v_add_f16_e32 v107, v112, v107
	v_fmamk_f16 v112, v27, 0x39e9, v84
	v_add_f16_e32 v113, v161, v113
	v_add_f16_e32 v108, v157, v108
	v_fmamk_f16 v157, v24, 0x35c8, v166
	v_mul_f16_sdwa v139, v21, v139 dst_sel:DWORD dst_unused:UNUSED_PAD src0_sel:WORD_1 src1_sel:DWORD
	v_add_f16_e32 v107, v112, v107
	v_fmamk_f16 v112, v29, 0xbbdd, v163
	v_mul_f16_sdwa v81, v24, v81 dst_sel:DWORD dst_unused:UNUSED_PAD src0_sel:WORD_1 src1_sel:DWORD
	v_add_f16_e32 v108, v157, v108
	v_fmamk_f16 v157, v26, 0x31e1, v167
	v_fmac_f16_e32 v151, 0x3bb2, v22
	v_add_f16_e32 v107, v112, v107
	v_mul_f16_sdwa v112, v37, v165 dst_sel:DWORD dst_unused:UNUSED_PAD src0_sel:WORD_1 src1_sel:DWORD
	v_mul_f16_sdwa v165, v22, v165 dst_sel:DWORD dst_unused:UNUSED_PAD src0_sel:WORD_1 src1_sel:DWORD
	v_add_f16_e32 v108, v157, v108
	v_fmamk_f16 v157, v28, 0xb964, v170
	v_mul_f16_sdwa v85, v26, v85 dst_sel:DWORD dst_unused:UNUSED_PAD src0_sel:WORD_1 src1_sel:DWORD
	v_fmamk_f16 v168, v41, 0x3722, v112
	v_fmamk_f16 v169, v39, 0x3722, v165
	v_fmac_f16_e32 v153, 0xb5c8, v18
	v_add_f16_e32 v108, v157, v108
	v_mul_f16_e32 v157, 0xb461, v79
	v_add_f16_e32 v107, v168, v107
	v_add_f16_e32 v109, v169, v109
	v_fmamk_f16 v169, v20, 0x2de8, v83
	v_fma_f16 v83, v20, 0x2de8, -v83
	v_fmamk_f16 v161, v37, 0x3bb2, v157
	v_fmamk_f16 v168, v23, 0xb8d2, v139
	v_mul_f16_sdwa v124, v28, v124 dst_sel:DWORD dst_unused:UNUSED_PAD src0_sel:WORD_1 src1_sel:DWORD
	v_add_f16_e32 v109, v169, v109
	v_fmac_f16_e32 v155, 0xb836, v21
	v_add_f16_e32 v108, v161, v108
	v_fma_f16 v161, v39, 0x3722, -v165
	v_fmac_f16_e32 v95, 0xba62, v22
	v_add_f16_e32 v109, v168, v109
	v_fmamk_f16 v168, v25, 0x3b76, v81
	v_fma_f16 v81, v25, 0x3b76, -v81
	v_add_f16_e32 v114, v161, v114
	v_fmac_f16_e32 v150, 0x3bf7, v24
	v_fma_f16 v110, v20, 0x3b76, -v110
	v_add_f16_e32 v109, v168, v109
	v_fmamk_f16 v168, v27, 0xbbdd, v85
	v_add_f16_e32 v83, v83, v114
	v_fma_f16 v114, v23, 0xb8d2, -v139
	v_add_f16_e32 v95, v95, v101
	v_fmac_f16_e32 v96, 0x31e1, v18
	v_mul_f16_sdwa v82, v37, v82 dst_sel:DWORD dst_unused:UNUSED_PAD src0_sel:WORD_1 src1_sel:DWORD
	v_fmac_f16_e32 v158, 0xb964, v26
	v_add_f16_e32 v83, v114, v83
	v_add_f16_e32 v114, v151, v115
	v_fma_f16 v87, v23, 0xbacd, -v87
	v_fmac_f16_e32 v136, 0x3836, v22
	v_add_f16_e32 v95, v96, v95
	v_add_f16_e32 v81, v81, v83
	v_fma_f16 v83, v27, 0xbbdd, -v85
	v_add_f16_e32 v85, v153, v114
	v_fma_f16 v114, v39, 0xb461, -v121
	v_fmac_f16_e32 v90, 0x3bb2, v21
	v_fma_f16 v96, v39, 0xb8d2, -v99
	v_add_f16_e32 v81, v83, v81
	v_fma_f16 v83, v29, 0x39e9, -v124
	v_add_f16_e32 v85, v155, v85
	v_add_f16_e32 v114, v114, v116
	v_fmamk_f16 v139, v41, 0xb461, v82
	v_fma_f16 v82, v41, 0xb461, -v82
	v_add_f16_e32 v81, v83, v81
	v_add_f16_e32 v83, v150, v85
	;; [unrolled: 1-line block ×3, first 2 shown]
	v_fmac_f16_e32 v159, 0xb1e1, v28
	v_add_f16_e32 v110, v136, v117
	v_fmac_f16_e32 v133, 0x3964, v18
	v_add_f16_e32 v83, v158, v83
	v_add_f16_e32 v85, v87, v85
	v_fma_f16 v87, v25, 0x2de8, -v148
	v_add_f16_e32 v90, v90, v95
	v_fmac_f16_e32 v92, 0x3964, v24
	v_add_f16_e32 v95, v96, v98
	v_fma_f16 v96, v20, 0xbbdd, -v100
	v_add_f16_e32 v81, v82, v81
	v_add_f16_e32 v82, v159, v83
	;; [unrolled: 1-line block ×3, first 2 shown]
	v_fma_f16 v84, v27, 0x39e9, -v84
	v_add_f16_e32 v85, v133, v110
	v_fmac_f16_e32 v140, 0xbb29, v21
	v_fma_f16 v87, v39, 0xbacd, -v137
	v_add_f16_e32 v90, v92, v90
	v_fmac_f16_e32 v93, 0xb5c8, v26
	v_add_f16_e32 v92, v96, v95
	v_mul_f16_e32 v95, 0x2de8, v17
	v_fma_f16 v96, v23, 0xb461, -v123
	v_add_f16_e32 v83, v84, v83
	v_fma_f16 v84, v29, 0xbbdd, -v163
	v_add_f16_e32 v85, v140, v85
	v_fmac_f16_e32 v142, 0xb1e1, v24
	v_add_f16_e32 v87, v87, v118
	v_fma_f16 v110, v20, 0x39e9, -v147
	v_fmac_f16_e32 v122, 0xb1e1, v22
	v_add_f16_e32 v90, v93, v90
	v_add_f16_e32 v44, v44, v95
	;; [unrolled: 1-line block ×3, first 2 shown]
	v_mul_f16_e32 v53, 0xb8d2, v53
	v_fma_f16 v93, v25, 0x39e9, -v126
	v_add_f16_e32 v83, v84, v83
	v_add_f16_e32 v84, v142, v85
	;; [unrolled: 1-line block ×3, first 2 shown]
	v_fma_f16 v110, v41, 0x3722, -v112
	v_add_f16_e32 v112, v122, v119
	v_fmac_f16_e32 v125, 0x3bb2, v18
	v_add_f16_e32 v44, v44, v89
	v_add_f16_e32 v46, v46, v53
	;; [unrolled: 1-line block ×3, first 2 shown]
	v_mul_f16_e32 v54, 0xbbdd, v54
	v_fma_f16 v89, v27, 0x3b76, -v104
	v_add_f16_e32 v83, v110, v83
	v_add_f16_e32 v110, v125, v112
	v_fma_f16 v112, v39, 0xbbdd, -v130
	v_add_f16_e32 v44, v46, v44
	v_add_f16_e32 v46, v47, v54
	;; [unrolled: 1-line block ×3, first 2 shown]
	v_mul_f16_e32 v53, 0xbacd, v56
	v_mul_f16_e32 v39, 0x39e9, v39
	v_pk_add_f16 v8, v8, v13
	v_add_f16_e32 v44, v46, v44
	v_mul_f16_e32 v46, 0x3722, v20
	v_add_f16_e32 v53, v55, v53
	v_mul_f16_e32 v56, 0xb461, v57
	v_sub_f16_e32 v36, v39, v36
	v_pk_add_f16 v8, v9, v8
	v_fma_f16 v54, v29, 0x2de8, -v103
	v_mul_f16_e32 v55, 0x2de8, v23
	v_add_f16_e32 v44, v53, v44
	v_add_f16_e32 v56, v58, v56
	v_mul_f16_e32 v58, 0x3722, v60
	v_add_f16_e32 v9, v36, v15
	v_sub_f16_e32 v15, v46, v38
	v_pk_add_f16 v6, v6, v8
	v_add_f16_e32 v47, v54, v47
	v_mul_f16_e32 v54, 0xb461, v25
	v_mul_f16_e32 v39, 0x3b76, v79
	v_add_f16_e32 v44, v56, v44
	v_add_f16_e32 v56, v64, v58
	;; [unrolled: 1-line block ×3, first 2 shown]
	v_sub_f16_e32 v15, v55, v40
	v_pk_add_f16 v6, v7, v6
	v_mul_f16_e32 v53, 0xb8d2, v27
	v_add_f16_e32 v38, v56, v44
	v_add_f16_e32 v8, v78, v39
	;; [unrolled: 1-line block ×3, first 2 shown]
	v_sub_f16_e32 v15, v54, v42
	v_pk_add_f16 v4, v4, v6
	v_mul_f16_e32 v57, 0xbacd, v29
	v_add_f16_e32 v7, v8, v38
	v_bfi_b32 v8, 0xffff, v66, v62
	v_add_f16_e32 v9, v15, v9
	v_pk_add_f16 v4, v5, v4
	v_sub_f16_e32 v5, v53, v43
	v_bfi_b32 v6, 0xffff, v67, v63
	v_mul_f16_e32 v13, 0xbbdd, v41
	v_bfi_b32 v38, 0xffff, v68, v65
	v_pk_add_f16 v2, v2, v4
	v_add_f16_e32 v4, v5, v9
	v_pk_add_f16 v5, v8, v61
	v_sub_f16_e32 v8, v57, v45
	v_fma_f16 v87, v23, 0x3722, -v149
	v_pk_add_f16 v2, v3, v2
	v_mul_lo_u16 v3, v51, 17
	v_pk_add_f16 v5, v6, v5
	v_bfi_b32 v39, 0xffff, v71, v69
	v_add_f16_e32 v4, v8, v4
	v_sub_f16_e32 v6, v13, v59
	v_pk_add_f16 v0, v0, v2
	v_and_b32_e32 v2, 0xffff, v3
	v_pk_add_f16 v3, v38, v5
	v_pk_mul_f16 v5, 0xbbdd, v19 op_sel_hi:[0,1]
	v_fmac_f16_e32 v144, 0x3bf7, v26
	v_add_f16_e32 v85, v87, v85
	v_fma_f16 v87, v25, 0xbbdd, -v146
	v_bfi_b32 v15, 0xffff, v72, v70
	v_add_f16_e32 v4, v6, v4
	v_pk_add_f16 v0, v1, v0
	v_add_lshl_u32 v1, v30, v2, 2
	v_pk_add_f16 v2, v39, v3
	v_pk_fma_f16 v3, 0xb1e1, v14, v5 op_sel:[0,0,1] op_sel_hi:[0,1,0] neg_lo:[0,1,0] neg_hi:[0,1,0]
	v_pk_mul_f16 v6, 0x35c8, v22 op_sel_hi:[0,1]
	v_pk_fma_f16 v5, 0xb1e1, v14, v5 op_sel:[0,0,1] op_sel_hi:[0,1,0]
	v_add_f16_e32 v84, v144, v84
	v_fmac_f16_e32 v145, 0xb5c8, v28
	v_add_f16_e32 v85, v87, v85
	v_fma_f16 v87, v27, 0x2de8, -v152
	v_fmac_f16_e32 v105, 0x35c8, v21
	v_bfi_b32 v40, 0xffff, v74, v73
	v_pk_add_f16 v2, v15, v2
	v_pk_add_f16 v3, v3, v61
	v_pk_fma_f16 v8, 0x3b76, v17, v6 op_sel_hi:[0,1,1] neg_lo:[0,0,1] neg_hi:[0,0,1]
	v_pk_mul_f16 v13, 0xbacd, v20 op_sel_hi:[0,1]
	v_pk_add_f16 v5, v5, v61
	v_pk_fma_f16 v6, 0x3b76, v17, v6 op_sel_hi:[0,1,1]
	v_add_f16_e32 v84, v145, v84
	v_fmac_f16_e32 v106, 0xba62, v37
	v_add_f16_e32 v85, v87, v85
	v_fma_f16 v87, v29, 0x3b76, -v154
	v_add_f16_e32 v105, v105, v110
	v_fmac_f16_e32 v128, 0xbb29, v24
	v_add_f16_e32 v110, v112, v120
	v_fma_f16 v112, v20, 0xb461, -v127
	v_fmac_f16_e32 v162, 0xbbf7, v18
	v_bfi_b32 v42, 0xffff, v80, v75
	v_pk_add_f16 v2, v40, v2
	v_pk_add_f16 v3, v8, v3
	v_pk_fma_f16 v8, 0xb836, v18, v13 op_sel:[0,0,1] op_sel_hi:[0,1,0] neg_lo:[0,1,0] neg_hi:[0,1,0]
	v_pk_mul_f16 v14, 0x39e9, v23 op_sel_hi:[0,1]
	v_pk_add_f16 v5, v6, v5
	v_pk_fma_f16 v6, 0xb836, v18, v13 op_sel:[0,0,1] op_sel_hi:[0,1,0]
	v_add_f16_e32 v84, v106, v84
	v_add_f16_e32 v85, v87, v85
	v_add_f16_e32 v87, v128, v105
	v_add_f16_e32 v105, v112, v110
	v_fma_f16 v106, v23, 0x3b76, -v132
	v_add_f16_e32 v113, v162, v113
	v_fmac_f16_e32 v164, 0x3a62, v21
	v_bfi_b32 v9, 0xffff, v77, v76
	v_pk_add_f16 v2, v42, v2
	v_pk_add_f16 v3, v8, v3
	v_pk_fma_f16 v8, 0x3964, v21, v14 op_sel:[0,0,1] op_sel_hi:[0,1,0] neg_lo:[0,1,0] neg_hi:[0,1,0]
	v_pk_mul_f16 v13, 0xb8d2, v25 op_sel_hi:[0,1]
	v_pk_add_f16 v5, v6, v5
	v_pk_fma_f16 v6, 0x3964, v21, v14 op_sel:[0,0,1] op_sel_hi:[0,1,0]
	v_add_f16_e32 v105, v106, v105
	v_fma_f16 v106, v25, 0x3722, -v135
	v_add_f16_e32 v113, v164, v113
	v_fmac_f16_e32 v166, 0xb5c8, v24
	v_pk_add_f16 v2, v9, v2
	v_pk_add_f16 v3, v8, v3
	v_pk_fma_f16 v8, 0xba62, v24, v13 op_sel:[0,0,1] op_sel_hi:[0,1,0] neg_lo:[0,1,0] neg_hi:[0,1,0]
	v_pk_mul_f16 v9, 0x3722, v27 op_sel_hi:[0,1]
	v_pk_add_f16 v5, v6, v5
	v_pk_fma_f16 v6, 0xba62, v24, v13 op_sel:[0,0,1] op_sel_hi:[0,1,0]
	v_fmac_f16_e32 v129, 0xb836, v26
	v_add_f16_e32 v101, v106, v105
	v_fma_f16 v105, v27, 0xbacd, -v138
	v_add_f16_e32 v113, v166, v113
	v_fmac_f16_e32 v167, 0xb1e1, v26
	v_pk_add_f16 v3, v8, v3
	v_pk_fma_f16 v8, 0x3b29, v26, v9 op_sel:[0,0,1] op_sel_hi:[0,1,0] neg_lo:[0,1,0] neg_hi:[0,1,0]
	v_pk_mul_f16 v13, 0xb461, v29 op_sel_hi:[0,1]
	v_pk_add_f16 v5, v6, v5
	v_pk_fma_f16 v6, 0x3b29, v26, v9 op_sel:[0,0,1] op_sel_hi:[0,1,0]
	v_add_f16_e32 v87, v129, v87
	v_fmac_f16_e32 v131, 0x3a62, v28
	v_add_f16_e32 v99, v105, v101
	v_fma_f16 v101, v29, 0xb8d2, -v141
	v_fmac_f16_e32 v91, 0xbbf7, v28
	v_add_f16_e32 v113, v167, v113
	v_fmac_f16_e32 v170, 0x3964, v28
	v_alignbit_b32 v7, v7, v2, 16
	v_pack_b32_f16 v2, v4, v2
	v_pk_add_f16 v3, v8, v3
	v_pk_fma_f16 v4, 0xbbb2, v28, v13 op_sel:[0,0,1] op_sel_hi:[0,1,0] neg_lo:[0,1,0] neg_hi:[0,1,0]
	v_pk_mul_f16 v8, 0x2de8, v41 op_sel_hi:[0,1]
	v_pk_add_f16 v5, v6, v5
	v_pk_fma_f16 v6, 0xbbb2, v28, v13 op_sel:[0,0,1] op_sel_hi:[0,1,0]
	v_add_f16_e32 v109, v168, v109
	v_fmamk_f16 v162, v29, 0x39e9, v124
	v_add_f16_e32 v87, v131, v87
	v_fmac_f16_e32 v134, 0x3964, v37
	v_add_f16_e32 v98, v101, v99
	v_fma_f16 v99, v41, 0x39e9, -v143
	v_add_f16_e32 v90, v91, v90
	v_fmac_f16_e32 v94, 0xb836, v37
	v_fma_f16 v36, v41, 0xbacd, -v102
	v_fmac_f16_e32 v160, 0x3b29, v37
	v_fma_f16 v110, v41, 0xb8d2, -v156
	v_add_f16_e32 v113, v170, v113
	v_fmac_f16_e32 v157, 0xbbb2, v37
	v_pk_add_f16 v3, v4, v3
	v_pk_fma_f16 v4, 0x3bf7, v37, v8 op_sel:[0,0,1] op_sel_hi:[0,1,0] neg_lo:[0,1,0] neg_hi:[0,1,0]
	v_pk_add_f16 v5, v6, v5
	v_pk_fma_f16 v6, 0x3bf7, v37, v8 op_sel:[0,0,1] op_sel_hi:[0,1,0]
	v_add_f16_e32 v109, v162, v109
	v_add_f16_e32 v87, v134, v87
	;; [unrolled: 1-line block ×8, first 2 shown]
	v_pk_add_f16 v3, v4, v3
	v_pk_add_f16 v4, v6, v5
	v_add_f16_e32 v109, v139, v109
	v_pack_b32_f16 v9, v91, v87
	v_pack_b32_f16 v13, v36, v90
	;; [unrolled: 1-line block ×4, first 2 shown]
	v_pk_add_f16 v0, v16, v0
	v_pack_b32_f16 v15, v81, v113
	ds_write2_b32 v1, v2, v7 offset0:1 offset1:2
	ds_write2_b32 v1, v13, v9 offset0:3 offset1:4
	;; [unrolled: 1-line block ×3, first 2 shown]
	ds_write2_b32 v1, v0, v15 offset1:7
	v_alignbit_b32 v0, v3, v4, 16
	v_alignbit_b32 v2, v4, v3, 16
	v_pack_b32_f16 v3, v107, v111
	v_pack_b32_f16 v4, v109, v108
	;; [unrolled: 1-line block ×5, first 2 shown]
	v_perm_b32 v8, v34, v32, 0x5040100
	v_perm_b32 v9, v35, v33, 0x5040100
	ds_write2_b32 v1, v2, v0 offset0:8 offset1:9
	ds_write2_b32 v1, v4, v3 offset0:10 offset1:11
	;; [unrolled: 1-line block ×4, first 2 shown]
	ds_write_b32 v1, v9 offset:64
.LBB0_7:
	s_or_b32 exec_lo, exec_lo, s0
	v_add_lshl_u32 v54, v30, v51, 2
	s_waitcnt lgkmcnt(0)
	s_barrier
	buffer_gl0_inv
	v_cmp_gt_u16_e64 s0, 17, v51
	v_add_nc_u32_e32 v0, 0x200, v54
	v_add_nc_u32_e32 v1, 0x800, v54
	;; [unrolled: 1-line block ×5, first 2 shown]
	ds_read2_b32 v[18:19], v0 offset0:42 offset1:144
	v_add_nc_u32_e32 v0, 0xc00, v54
	ds_read2_b32 v[16:17], v54 offset1:85
	ds_read2_b32 v[28:29], v1 offset0:32 offset1:117
	ds_read2_b32 v[20:21], v2 offset0:74 offset1:176
	;; [unrolled: 1-line block ×5, first 2 shown]
	ds_read_b32 v38, v54 offset:5032
                                        ; implicit-def: $vgpr39
                                        ; implicit-def: $vgpr42
                                        ; implicit-def: $vgpr40
                                        ; implicit-def: $vgpr43
                                        ; implicit-def: $vgpr41
                                        ; implicit-def: $vgpr44
	s_and_saveexec_b32 s1, s0
	s_cbranch_execz .LBB0_9
; %bb.8:
	ds_read_b32 v32, v54 offset:1020
	ds_read_b32 v33, v54 offset:2108
	;; [unrolled: 1-line block ×5, first 2 shown]
	s_waitcnt lgkmcnt(4)
	v_lshrrev_b32_e32 v34, 16, v32
	s_waitcnt lgkmcnt(3)
	v_lshrrev_b32_e32 v35, 16, v33
	;; [unrolled: 2-line block ×5, first 2 shown]
.LBB0_9:
	s_or_b32 exec_lo, exec_lo, s1
	v_and_b32_e32 v0, 0xff, v51
	v_mov_b32_e32 v3, 4
	v_add_nc_u16 v4, v51, 0xaa
	v_mov_b32_e32 v58, 0x55
	s_waitcnt lgkmcnt(7)
	v_lshrrev_b32_e32 v59, 16, v19
	v_mul_lo_u16 v0, 0xf1, v0
	s_waitcnt lgkmcnt(5)
	v_lshrrev_b32_e32 v60, 16, v28
	v_and_b32_e32 v5, 0xff, v4
	s_waitcnt lgkmcnt(4)
	v_lshrrev_b32_e32 v61, 16, v21
	s_waitcnt lgkmcnt(3)
	v_lshrrev_b32_e32 v62, 16, v26
	v_lshrrev_b16 v45, 12, v0
	v_add_nc_u16 v0, v51, 0x55
	v_mul_lo_u16 v5, 0xf1, v5
	s_waitcnt lgkmcnt(2)
	v_lshrrev_b32_e32 v63, 16, v24
	v_lshrrev_b32_e32 v64, 16, v29
	v_mul_lo_u16 v1, v45, 17
	v_and_b32_e32 v2, 0xff, v0
	v_lshrrev_b16 v53, 12, v5
	v_mul_u32_u24_sdwa v45, v45, v58 dst_sel:DWORD dst_unused:UNUSED_PAD src0_sel:WORD_0 src1_sel:DWORD
	s_waitcnt lgkmcnt(1)
	v_lshrrev_b32_e32 v65, 16, v22
	v_sub_nc_u16 v46, v51, v1
	v_mul_lo_u16 v1, 0xf1, v2
	v_add_nc_u32_e32 v2, 0xff, v51
	v_lshrrev_b32_e32 v69, 16, v20
	v_lshrrev_b32_e32 v66, 16, v27
	v_lshlrev_b32_sdwa v6, v3, v46 dst_sel:DWORD dst_unused:UNUSED_PAD src0_sel:DWORD src1_sel:BYTE_0
	v_lshrrev_b16 v47, 12, v1
	v_mov_b32_e32 v1, 0xf0f1
	v_add_nc_u32_sdwa v45, v45, v46 dst_sel:DWORD dst_unused:UNUSED_PAD src0_sel:DWORD src1_sel:BYTE_0
	v_lshrrev_b32_e32 v68, 16, v25
	global_load_dwordx4 v[12:15], v6, s[2:3]
	v_mul_lo_u16 v6, v47, 17
	v_mul_u32_u24_sdwa v1, v2, v1 dst_sel:DWORD dst_unused:UNUSED_PAD src0_sel:WORD_0 src1_sel:DWORD
	v_mul_u32_u24_sdwa v46, v47, v58 dst_sel:DWORD dst_unused:UNUSED_PAD src0_sel:WORD_0 src1_sel:DWORD
	;; [unrolled: 1-line block ×3, first 2 shown]
	v_add_lshl_u32 v58, v30, v45, 2
	v_sub_nc_u16 v56, v0, v6
	v_lshrrev_b32_e32 v0, 20, v1
	v_mul_lo_u16 v1, v53, 17
	v_lshrrev_b32_e32 v70, 16, v23
	s_waitcnt lgkmcnt(0)
	v_lshrrev_b32_e32 v53, 16, v38
	v_lshlrev_b32_sdwa v5, v3, v56 dst_sel:DWORD dst_unused:UNUSED_PAD src0_sel:DWORD src1_sel:BYTE_0
	v_mul_lo_u16 v0, v0, 17
	v_sub_nc_u16 v57, v4, v1
	v_mov_b32_e32 v1, 2
	v_add_nc_u32_sdwa v45, v46, v56 dst_sel:DWORD dst_unused:UNUSED_PAD src0_sel:DWORD src1_sel:BYTE_0
	global_load_dwordx4 v[8:11], v5, s[2:3]
	v_sub_nc_u16 v55, v2, v0
	v_lshlrev_b32_sdwa v0, v3, v57 dst_sel:DWORD dst_unused:UNUSED_PAD src0_sel:DWORD src1_sel:BYTE_0
	v_add_nc_u32_sdwa v46, v47, v57 dst_sel:DWORD dst_unused:UNUSED_PAD src0_sel:DWORD src1_sel:BYTE_0
	v_add_lshl_u32 v57, v30, v45, 2
	v_lshrrev_b32_e32 v37, 16, v16
	v_lshlrev_b16 v2, 2, v55
	global_load_dwordx4 v[4:7], v0, s[2:3]
	v_add_lshl_u32 v56, v30, v46, 2
	v_lshrrev_b32_e32 v36, 16, v17
	v_lshrrev_b32_e32 v67, 16, v18
	v_lshlrev_b32_sdwa v0, v1, v2 dst_sel:DWORD dst_unused:UNUSED_PAD src0_sel:DWORD src1_sel:WORD_0
	s_load_dwordx4 s[4:7], s[6:7], 0x0
	v_and_b32_e32 v55, 0xffff, v55
	global_load_dwordx4 v[0:3], v0, s[2:3]
	s_waitcnt vmcnt(0) lgkmcnt(0)
	s_barrier
	buffer_gl0_inv
	v_mul_f16_sdwa v45, v59, v12 dst_sel:DWORD dst_unused:UNUSED_PAD src0_sel:DWORD src1_sel:WORD_1
	v_mul_f16_sdwa v46, v19, v12 dst_sel:DWORD dst_unused:UNUSED_PAD src0_sel:DWORD src1_sel:WORD_1
	;; [unrolled: 1-line block ×8, first 2 shown]
	v_fma_f16 v45, v19, v12, -v45
	v_fmac_f16_e32 v46, v59, v12
	v_fma_f16 v47, v28, v13, -v47
	v_fmac_f16_e32 v71, v60, v13
	;; [unrolled: 2-line block ×4, first 2 shown]
	v_mul_f16_sdwa v60, v63, v8 dst_sel:DWORD dst_unused:UNUSED_PAD src0_sel:DWORD src1_sel:WORD_1
	v_mul_f16_sdwa v61, v24, v8 dst_sel:DWORD dst_unused:UNUSED_PAD src0_sel:DWORD src1_sel:WORD_1
	;; [unrolled: 1-line block ×24, first 2 shown]
	v_fma_f16 v60, v24, v8, -v60
	v_fmac_f16_e32 v61, v63, v8
	v_fma_f16 v29, v29, v9, -v62
	v_fmac_f16_e32 v74, v64, v9
	;; [unrolled: 2-line block ×3, first 2 shown]
	v_fmac_f16_e32 v79, v66, v11
	v_fma_f16 v62, v20, v5, -v82
	v_fmac_f16_e32 v87, v53, v7
	v_fmac_f16_e32 v28, v35, v0
	;; [unrolled: 1-line block ×4, first 2 shown]
	v_fma_f16 v20, v41, v3, -v91
	v_fmac_f16_e32 v19, v44, v3
	v_add_f16_e32 v35, v47, v59
	v_sub_f16_e32 v41, v45, v47
	v_sub_f16_e32 v42, v72, v59
	v_add_f16_e32 v43, v45, v72
	v_sub_f16_e32 v44, v47, v45
	v_sub_f16_e32 v53, v59, v72
	v_add_f16_e32 v65, v37, v46
	v_add_f16_e32 v66, v71, v73
	v_fma_f16 v27, v27, v11, -v78
	v_add_f16_e32 v76, v46, v75
	v_fma_f16 v25, v25, v4, -v80
	v_fmac_f16_e32 v81, v68, v4
	v_fmac_f16_e32 v83, v69, v5
	v_fma_f16 v64, v23, v6, -v84
	v_fmac_f16_e32 v85, v70, v6
	v_fma_f16 v22, v33, v0, -v88
	v_fma_f16 v23, v39, v1, -v89
	v_add_f16_e32 v33, v16, v45
	v_sub_f16_e32 v39, v46, v75
	v_sub_f16_e32 v69, v46, v71
	;; [unrolled: 1-line block ×5, first 2 shown]
	v_fma_f16 v38, v38, v7, -v86
	v_fma_f16 v24, v40, v2, -v90
	v_sub_f16_e32 v45, v45, v72
	v_fma_f16 v35, -0.5, v35, v16
	v_add_f16_e32 v41, v41, v42
	v_fma_f16 v16, -0.5, v43, v16
	v_add_f16_e32 v42, v44, v53
	v_add_f16_e32 v43, v65, v71
	v_fma_f16 v44, -0.5, v66, v37
	v_add_f16_e32 v53, v17, v60
	v_add_f16_e32 v65, v29, v63
	;; [unrolled: 1-line block ×4, first 2 shown]
	v_sub_f16_e32 v40, v71, v73
	v_sub_f16_e32 v68, v47, v59
	v_fmac_f16_e32 v37, -0.5, v76
	v_add_f16_e32 v76, v60, v27
	v_add_f16_e32 v90, v61, v79
	;; [unrolled: 1-line block ×5, first 2 shown]
	v_sub_f16_e32 v70, v60, v29
	v_sub_f16_e32 v71, v27, v63
	;; [unrolled: 1-line block ×4, first 2 shown]
	v_add_f16_e32 v92, v18, v25
	v_add_f16_e32 v93, v62, v64
	;; [unrolled: 1-line block ×6, first 2 shown]
	v_sub_f16_e32 v66, v61, v79
	v_sub_f16_e32 v69, v74, v77
	v_sub_f16_e32 v86, v60, v27
	v_sub_f16_e32 v88, v29, v63
	v_sub_f16_e32 v60, v61, v74
	v_sub_f16_e32 v89, v79, v77
	v_sub_f16_e32 v61, v74, v61
	v_sub_f16_e32 v91, v77, v79
	v_add_f16_e32 v108, v23, v24
	v_add_f16_e32 v113, v22, v20
	;; [unrolled: 1-line block ×4, first 2 shown]
	v_fmamk_f16 v124, v39, 0x3b9c, v35
	v_fmac_f16_e32 v35, 0xbb9c, v39
	v_add_f16_e32 v43, v43, v73
	v_fmamk_f16 v73, v45, 0xbb9c, v44
	v_fmac_f16_e32 v44, 0x3b9c, v45
	v_add_f16_e32 v29, v53, v29
	v_fma_f16 v53, -0.5, v65, v17
	v_add_f16_e32 v65, v82, v74
	v_fma_f16 v74, -0.5, v84, v36
	v_fmamk_f16 v125, v40, 0xbb9c, v16
	v_fmac_f16_e32 v16, 0x3b9c, v40
	v_fmamk_f16 v126, v68, 0x3b9c, v37
	v_fmac_f16_e32 v37, 0xbb9c, v68
	v_fmac_f16_e32 v17, -0.5, v76
	v_fmac_f16_e32 v36, -0.5, v90
	v_sub_f16_e32 v94, v81, v87
	v_sub_f16_e32 v95, v83, v85
	;; [unrolled: 1-line block ×7, first 2 shown]
	v_add_f16_e32 v70, v70, v71
	v_add_f16_e32 v71, v78, v80
	;; [unrolled: 1-line block ×3, first 2 shown]
	v_fma_f16 v82, -0.5, v93, v18
	v_add_f16_e32 v83, v101, v83
	v_fma_f16 v90, -0.5, v102, v67
	v_sub_f16_e32 v100, v64, v38
	v_sub_f16_e32 v103, v62, v64
	v_fmac_f16_e32 v18, -0.5, v98
	v_fmac_f16_e32 v67, -0.5, v106
	v_sub_f16_e32 v109, v28, v19
	v_sub_f16_e32 v110, v21, v26
	;; [unrolled: 1-line block ×4, first 2 shown]
	v_add_f16_e32 v33, v33, v59
	v_add_f16_e32 v76, v60, v89
	v_add_f16_e32 v78, v61, v91
	v_fma_f16 v59, -0.5, v108, v32
	v_fma_f16 v60, -0.5, v113, v32
	;; [unrolled: 1-line block ×4, first 2 shown]
	v_fmac_f16_e32 v124, 0x38b4, v40
	v_fmac_f16_e32 v35, 0xb8b4, v40
	;; [unrolled: 1-line block ×4, first 2 shown]
	v_fmamk_f16 v40, v66, 0x3b9c, v53
	v_fmamk_f16 v68, v86, 0xbb9c, v74
	v_fmac_f16_e32 v125, 0x38b4, v39
	v_fmac_f16_e32 v16, 0xb8b4, v39
	v_add_f16_e32 v39, v43, v75
	v_fmac_f16_e32 v126, 0xb8b4, v45
	v_fmac_f16_e32 v37, 0x38b4, v45
	v_fmamk_f16 v43, v69, 0xbb9c, v17
	v_fmac_f16_e32 v17, 0x3b9c, v69
	v_fmamk_f16 v75, v88, 0x3b9c, v36
	v_fmac_f16_e32 v36, 0xbb9c, v88
	v_fmac_f16_e32 v53, 0xbb9c, v66
	;; [unrolled: 1-line block ×3, first 2 shown]
	v_sub_f16_e32 v97, v38, v64
	v_sub_f16_e32 v105, v87, v85
	;; [unrolled: 1-line block ×3, first 2 shown]
	v_add_f16_e32 v45, v65, v77
	v_add_f16_e32 v77, v80, v64
	v_fmamk_f16 v80, v94, 0x3b9c, v82
	v_add_f16_e32 v83, v83, v85
	v_fmamk_f16 v85, v25, 0xbb9c, v90
	;; [unrolled: 2-line block ×3, first 2 shown]
	v_fmac_f16_e32 v18, 0x3b9c, v95
	v_fmamk_f16 v99, v103, 0x3b9c, v67
	v_fmac_f16_e32 v67, 0xbb9c, v103
	v_sub_f16_e32 v111, v22, v23
	v_sub_f16_e32 v112, v20, v24
	;; [unrolled: 1-line block ×8, first 2 shown]
	v_add_f16_e32 v72, v33, v72
	v_add_f16_e32 v29, v29, v63
	v_fmac_f16_e32 v82, 0xbb9c, v94
	v_fmac_f16_e32 v90, 0x3b9c, v25
	v_fmamk_f16 v33, v109, 0x3b9c, v59
	v_fmac_f16_e32 v59, 0xbb9c, v109
	v_fmamk_f16 v63, v110, 0xbb9c, v60
	;; [unrolled: 2-line block ×4, first 2 shown]
	v_fmac_f16_e32 v62, 0xbb9c, v118
	v_fmac_f16_e32 v124, 0x34f2, v41
	;; [unrolled: 1-line block ×17, first 2 shown]
	v_add_f16_e32 v84, v96, v97
	v_add_f16_e32 v91, v104, v105
	v_fmac_f16_e32 v80, 0x38b4, v95
	v_fmac_f16_e32 v85, 0xb8b4, v103
	v_add_f16_e32 v81, v81, v107
	v_fmac_f16_e32 v98, 0x38b4, v94
	v_fmac_f16_e32 v18, 0xb8b4, v94
	v_fmac_f16_e32 v99, 0xb8b4, v25
	v_fmac_f16_e32 v67, 0x38b4, v25
	v_add_f16_e32 v92, v111, v112
	v_add_f16_e32 v93, v114, v115
	;; [unrolled: 1-line block ×6, first 2 shown]
	v_fmac_f16_e32 v82, 0xb8b4, v95
	v_fmac_f16_e32 v90, 0x38b4, v103
	v_fmac_f16_e32 v33, 0x38b4, v110
	v_fmac_f16_e32 v59, 0xb8b4, v110
	v_fmac_f16_e32 v63, 0x38b4, v109
	v_fmac_f16_e32 v60, 0xb8b4, v109
	v_fmac_f16_e32 v65, 0xb8b4, v118
	v_fmac_f16_e32 v61, 0x38b4, v118
	v_fmac_f16_e32 v64, 0xb8b4, v117
	v_fmac_f16_e32 v62, 0x38b4, v117
	v_pack_b32_f16 v25, v72, v39
	v_fmac_f16_e32 v40, 0x34f2, v70
	v_fmac_f16_e32 v68, 0x34f2, v76
	v_pack_b32_f16 v39, v124, v73
	v_fmac_f16_e32 v43, 0x34f2, v71
	v_fmac_f16_e32 v17, 0x34f2, v71
	;; [unrolled: 1-line block ×4, first 2 shown]
	v_pack_b32_f16 v42, v125, v126
	v_pack_b32_f16 v16, v16, v37
	v_fmac_f16_e32 v53, 0x34f2, v70
	v_fmac_f16_e32 v74, 0x34f2, v76
	v_pack_b32_f16 v35, v35, v44
	v_add_f16_e32 v38, v77, v38
	v_add_f16_e32 v41, v83, v87
	v_fmac_f16_e32 v80, 0x34f2, v84
	v_fmac_f16_e32 v85, 0x34f2, v91
	;; [unrolled: 1-line block ×16, first 2 shown]
	v_pack_b32_f16 v27, v27, v29
	ds_write2_b32 v58, v25, v39 offset1:17
	ds_write2_b32 v58, v42, v16 offset0:34 offset1:51
	ds_write_b32 v58, v35 offset:272
	v_pack_b32_f16 v16, v40, v68
	v_pack_b32_f16 v25, v43, v75
	;; [unrolled: 1-line block ×9, first 2 shown]
	ds_write2_b32 v57, v27, v16 offset1:17
	ds_write2_b32 v57, v25, v17 offset0:34 offset1:51
	ds_write_b32 v57, v35 offset:272
	ds_write2_b32 v56, v29, v36 offset1:17
	ds_write2_b32 v56, v37, v18 offset0:34 offset1:51
	ds_write_b32 v56, v38 offset:272
	s_and_saveexec_b32 s1, s0
	s_cbranch_execz .LBB0_11
; %bb.10:
	v_add_f16_e32 v16, v34, v28
	v_add_f16_e32 v17, v32, v22
	v_add_lshl_u32 v18, v30, v55, 2
	v_add_f16_e32 v16, v16, v21
	v_add_f16_e32 v17, v17, v23
	v_add_nc_u32_e32 v23, 0x1400, v18
	v_perm_b32 v21, v65, v33, 0x5040100
	v_add_nc_u32_e32 v22, 0x1200, v18
	v_add_f16_e32 v16, v16, v26
	v_add_f16_e32 v17, v17, v24
	;; [unrolled: 1-line block ×4, first 2 shown]
	v_perm_b32 v19, v64, v63, 0x5040100
	v_perm_b32 v20, v62, v60, 0x5040100
	v_pack_b32_f16 v16, v17, v16
	v_perm_b32 v17, v61, v59, 0x5040100
	ds_write2_b32 v23, v19, v20 offset0:29 offset1:46
	ds_write2_b32 v22, v16, v21 offset0:123 offset1:140
	ds_write_b32 v18, v17 offset:5372
.LBB0_11:
	s_or_b32 exec_lo, exec_lo, s1
	v_mad_u64_u32 v[28:29], null, v51, 60, s[2:3]
	s_waitcnt lgkmcnt(0)
	s_barrier
	buffer_gl0_inv
	v_add_nc_u32_e32 v32, 0x200, v54
	v_add_nc_u32_e32 v38, 0x400, v54
	;; [unrolled: 1-line block ×3, first 2 shown]
	s_clause 0x3
	global_load_dwordx4 v[24:27], v[28:29], off offset:272
	global_load_dwordx4 v[20:23], v[28:29], off offset:288
	;; [unrolled: 1-line block ×3, first 2 shown]
	global_load_dwordx3 v[28:30], v[28:29], off offset:320
	v_add_nc_u32_e32 v42, 0xa00, v54
	ds_read2_b32 v[34:35], v54 offset1:85
	ds_read_b32 v68, v54 offset:680
	ds_read_b32 v69, v54 offset:5100
	ds_read2_b32 v[36:37], v32 offset0:127 offset1:212
	v_add_nc_u32_e32 v32, 0xc00, v54
	v_add_nc_u32_e32 v46, 0x1000, v54
	ds_read2_b32 v[38:39], v38 offset0:169 offset1:254
	ds_read2_b32 v[40:41], v40 offset0:83 offset1:168
	ds_read2_b32 v[42:43], v42 offset0:125 offset1:210
	ds_read2_b32 v[44:45], v32 offset0:167 offset1:252
	ds_read2_b32 v[46:47], v46 offset0:81 offset1:166
	v_lshl_add_u32 v53, v51, 2, v52
	v_add_nc_u32_e32 v66, 0x200, v53
	v_add_nc_u32_e32 v67, 0x400, v53
	;; [unrolled: 1-line block ×6, first 2 shown]
	s_waitcnt lgkmcnt(7)
	v_lshrrev_b32_e32 v71, 16, v68
	v_lshrrev_b32_e32 v70, 16, v35
	s_waitcnt lgkmcnt(6)
	v_lshrrev_b32_e32 v72, 16, v69
	s_waitcnt lgkmcnt(5)
	v_lshrrev_b32_e32 v73, 16, v36
	v_lshrrev_b32_e32 v74, 16, v37
	s_waitcnt lgkmcnt(4)
	v_lshrrev_b32_e32 v75, 16, v38
	v_lshrrev_b32_e32 v76, 16, v39
	s_waitcnt lgkmcnt(3)
	v_lshrrev_b32_e32 v77, 16, v40
	v_lshrrev_b32_e32 v78, 16, v41
	s_waitcnt lgkmcnt(2)
	v_lshrrev_b32_e32 v79, 16, v42
	v_lshrrev_b32_e32 v80, 16, v43
	s_waitcnt lgkmcnt(1)
	v_lshrrev_b32_e32 v81, 16, v44
	v_lshrrev_b32_e32 v82, 16, v45
	s_waitcnt lgkmcnt(0)
	v_lshrrev_b32_e32 v83, 16, v46
	v_lshrrev_b32_e32 v85, 16, v47
	v_lshrrev_b32_e32 v32, 16, v34
	s_waitcnt vmcnt(3)
	v_mul_f16_sdwa v89, v70, v24 dst_sel:DWORD dst_unused:UNUSED_PAD src0_sel:DWORD src1_sel:WORD_1
	v_mul_f16_sdwa v90, v35, v24 dst_sel:DWORD dst_unused:UNUSED_PAD src0_sel:DWORD src1_sel:WORD_1
	v_mul_f16_sdwa v91, v71, v25 dst_sel:DWORD dst_unused:UNUSED_PAD src0_sel:DWORD src1_sel:WORD_1
	v_mul_f16_sdwa v92, v68, v25 dst_sel:DWORD dst_unused:UNUSED_PAD src0_sel:DWORD src1_sel:WORD_1
	v_mul_f16_sdwa v93, v73, v26 dst_sel:DWORD dst_unused:UNUSED_PAD src0_sel:DWORD src1_sel:WORD_1
	v_mul_f16_sdwa v94, v36, v26 dst_sel:DWORD dst_unused:UNUSED_PAD src0_sel:DWORD src1_sel:WORD_1
	v_mul_f16_sdwa v95, v74, v27 dst_sel:DWORD dst_unused:UNUSED_PAD src0_sel:DWORD src1_sel:WORD_1
	v_mul_f16_sdwa v96, v37, v27 dst_sel:DWORD dst_unused:UNUSED_PAD src0_sel:DWORD src1_sel:WORD_1
	s_waitcnt vmcnt(2)
	v_mul_f16_sdwa v97, v75, v20 dst_sel:DWORD dst_unused:UNUSED_PAD src0_sel:DWORD src1_sel:WORD_1
	v_mul_f16_sdwa v98, v38, v20 dst_sel:DWORD dst_unused:UNUSED_PAD src0_sel:DWORD src1_sel:WORD_1
	v_mul_f16_sdwa v99, v76, v21 dst_sel:DWORD dst_unused:UNUSED_PAD src0_sel:DWORD src1_sel:WORD_1
	v_mul_f16_sdwa v100, v39, v21 dst_sel:DWORD dst_unused:UNUSED_PAD src0_sel:DWORD src1_sel:WORD_1
	v_mul_f16_sdwa v101, v77, v22 dst_sel:DWORD dst_unused:UNUSED_PAD src0_sel:DWORD src1_sel:WORD_1
	v_mul_f16_sdwa v102, v40, v22 dst_sel:DWORD dst_unused:UNUSED_PAD src0_sel:DWORD src1_sel:WORD_1
	v_mul_f16_sdwa v103, v78, v23 dst_sel:DWORD dst_unused:UNUSED_PAD src0_sel:DWORD src1_sel:WORD_1
	v_mul_f16_sdwa v104, v41, v23 dst_sel:DWORD dst_unused:UNUSED_PAD src0_sel:DWORD src1_sel:WORD_1
	s_waitcnt vmcnt(1)
	v_mul_f16_sdwa v105, v79, v16 dst_sel:DWORD dst_unused:UNUSED_PAD src0_sel:DWORD src1_sel:WORD_1
	v_mul_f16_sdwa v106, v42, v16 dst_sel:DWORD dst_unused:UNUSED_PAD src0_sel:DWORD src1_sel:WORD_1
	v_mul_f16_sdwa v107, v80, v17 dst_sel:DWORD dst_unused:UNUSED_PAD src0_sel:DWORD src1_sel:WORD_1
	v_mul_f16_sdwa v108, v43, v17 dst_sel:DWORD dst_unused:UNUSED_PAD src0_sel:DWORD src1_sel:WORD_1
	v_mul_f16_sdwa v109, v81, v18 dst_sel:DWORD dst_unused:UNUSED_PAD src0_sel:DWORD src1_sel:WORD_1
	v_mul_f16_sdwa v110, v44, v18 dst_sel:DWORD dst_unused:UNUSED_PAD src0_sel:DWORD src1_sel:WORD_1
	v_mul_f16_sdwa v111, v82, v19 dst_sel:DWORD dst_unused:UNUSED_PAD src0_sel:DWORD src1_sel:WORD_1
	v_mul_f16_sdwa v112, v45, v19 dst_sel:DWORD dst_unused:UNUSED_PAD src0_sel:DWORD src1_sel:WORD_1
	s_waitcnt vmcnt(0)
	v_mul_f16_sdwa v113, v83, v28 dst_sel:DWORD dst_unused:UNUSED_PAD src0_sel:DWORD src1_sel:WORD_1
	v_mul_f16_sdwa v114, v46, v28 dst_sel:DWORD dst_unused:UNUSED_PAD src0_sel:DWORD src1_sel:WORD_1
	;; [unrolled: 1-line block ×6, first 2 shown]
	v_fma_f16 v35, v35, v24, -v89
	v_fmac_f16_e32 v90, v70, v24
	v_fma_f16 v68, v68, v25, -v91
	v_fmac_f16_e32 v92, v71, v25
	;; [unrolled: 2-line block ×15, first 2 shown]
	v_sub_f16_e32 v41, v34, v41
	v_sub_f16_e32 v70, v32, v104
	;; [unrolled: 1-line block ×16, first 2 shown]
	v_fma_f16 v34, v34, 2.0, -v41
	v_fma_f16 v32, v32, 2.0, -v70
	;; [unrolled: 1-line block ×16, first 2 shown]
	v_sub_f16_e32 v71, v41, v71
	v_add_f16_e32 v45, v70, v45
	v_sub_f16_e32 v73, v43, v73
	v_add_f16_e32 v47, v72, v47
	;; [unrolled: 2-line block ×4, first 2 shown]
	v_sub_f16_e32 v37, v34, v37
	v_sub_f16_e32 v78, v32, v78
	v_fma_f16 v41, v41, 2.0, -v71
	v_fma_f16 v70, v70, 2.0, -v45
	v_sub_f16_e32 v39, v68, v39
	v_sub_f16_e32 v80, v79, v80
	v_fma_f16 v43, v43, 2.0, -v73
	v_fma_f16 v72, v72, 2.0, -v47
	;; [unrolled: 4-line block ×4, first 2 shown]
	v_fmamk_f16 v89, v73, 0x39a8, v71
	v_fmamk_f16 v90, v47, 0x39a8, v45
	v_fmamk_f16 v91, v77, 0x39a8, v75
	v_fmamk_f16 v92, v69, 0x39a8, v46
	v_fma_f16 v34, v34, 2.0, -v37
	v_fma_f16 v93, v32, 2.0, -v78
	;; [unrolled: 1-line block ×8, first 2 shown]
	v_fmamk_f16 v94, v43, 0xb9a8, v41
	v_fmamk_f16 v95, v72, 0xb9a8, v70
	v_add_f16_e32 v83, v78, v39
	v_fmac_f16_e32 v89, 0xb9a8, v47
	v_fmac_f16_e32 v90, 0x39a8, v73
	v_fmamk_f16 v47, v44, 0xb9a8, v42
	v_fmamk_f16 v96, v76, 0xb9a8, v74
	v_fmac_f16_e32 v91, 0xb9a8, v69
	v_fmac_f16_e32 v92, 0x39a8, v77
	v_sub_f16_e32 v80, v37, v80
	v_sub_f16_e32 v85, v38, v85
	v_add_f16_e32 v40, v82, v40
	v_sub_f16_e32 v77, v34, v32
	v_sub_f16_e32 v97, v93, v68
	v_fmac_f16_e32 v94, 0xb9a8, v72
	v_fmac_f16_e32 v95, 0x39a8, v43
	v_fma_f16 v99, v78, 2.0, -v83
	v_fma_f16 v100, v71, 2.0, -v89
	v_fma_f16 v101, v45, 2.0, -v90
	v_sub_f16_e32 v43, v79, v35
	v_sub_f16_e32 v36, v81, v36
	v_fmac_f16_e32 v47, 0xb9a8, v76
	v_fmac_f16_e32 v96, 0x39a8, v44
	v_fma_f16 v78, v75, 2.0, -v91
	v_fma_f16 v46, v46, 2.0, -v92
	;; [unrolled: 1-line block ×5, first 2 shown]
	v_fmamk_f16 v35, v85, 0x39a8, v80
	v_fmamk_f16 v32, v91, 0x3b64, v89
	;; [unrolled: 1-line block ×3, first 2 shown]
	v_fma_f16 v82, v34, 2.0, -v77
	v_fma_f16 v93, v93, 2.0, -v97
	;; [unrolled: 1-line block ×8, first 2 shown]
	v_fmamk_f16 v38, v78, 0xb61f, v100
	v_fmamk_f16 v73, v46, 0xb61f, v101
	;; [unrolled: 1-line block ×7, first 2 shown]
	v_sub_f16_e32 v39, v77, v36
	v_add_f16_e32 v72, v97, v43
	v_fmac_f16_e32 v35, 0xb9a8, v40
	v_fmac_f16_e32 v32, 0xb61f, v92
	;; [unrolled: 1-line block ×3, first 2 shown]
	v_sub_f16_e32 v41, v82, v41
	v_sub_f16_e32 v76, v93, v70
	v_fmamk_f16 v36, v42, 0xbb64, v102
	v_fmamk_f16 v75, v81, 0xbb64, v103
	v_fmac_f16_e32 v38, 0xbb64, v46
	v_fmac_f16_e32 v73, 0x3b64, v78
	;; [unrolled: 1-line block ×7, first 2 shown]
	v_fma_f16 v43, v77, 2.0, -v39
	v_fma_f16 v79, v97, 2.0, -v72
	;; [unrolled: 1-line block ×3, first 2 shown]
	v_pack_b32_f16 v46, v32, v68
	v_fma_f16 v70, v82, 2.0, -v41
	v_fma_f16 v80, v93, 2.0, -v76
	v_fmac_f16_e32 v36, 0xb61f, v81
	v_fmac_f16_e32 v75, 0x361f, v42
	v_fma_f16 v42, v100, 2.0, -v38
	v_fma_f16 v82, v101, 2.0, -v73
	;; [unrolled: 1-line block ×9, first 2 shown]
	v_pack_b32_f16 v91, v43, v79
	ds_write_b32 v53, v46 offset:5100
	v_fma_f16 v46, v102, 2.0, -v36
	v_fma_f16 v85, v103, 2.0, -v75
	v_pack_b32_f16 v98, v70, v80
	v_pack_b32_f16 v100, v42, v82
	;; [unrolled: 1-line block ×13, first 2 shown]
	ds_write_b32 v53, v98
	v_pack_b32_f16 v98, v46, v85
	ds_write2_b32 v66, v100, v91 offset0:127 offset1:212
	ds_write2_b32 v67, v101, v92 offset0:169 offset1:254
	;; [unrolled: 1-line block ×7, first 2 shown]
	s_waitcnt lgkmcnt(0)
	s_barrier
	buffer_gl0_inv
	s_and_saveexec_b32 s8, vcc_lo
	s_cbranch_execz .LBB0_13
; %bb.12:
	s_add_u32 s2, s12, 0x1540
	s_addc_u32 s3, s13, 0
	v_add_co_u32 v92, s1, s2, v50
	global_load_dword v93, v50, s[2:3]
	v_add_co_ci_u32_e64 v94, null, s3, 0, s1
	v_add_co_u32 v89, s1, 0x800, v92
	v_or_b32_e32 v91, 0xa00, v50
	v_add_co_ci_u32_e64 v90, s1, 0, v94, s1
	s_clause 0x7
	global_load_dword v105, v50, s[2:3] offset:320
	global_load_dword v106, v50, s[2:3] offset:640
	;; [unrolled: 1-line block ×6, first 2 shown]
	global_load_dword v111, v91, s[2:3]
	global_load_dword v112, v[89:90], off offset:192
	v_add_co_u32 v91, s1, 0x1000, v92
	v_add_co_ci_u32_e64 v92, s1, 0, v94, s1
	s_clause 0x5
	global_load_dword v113, v[89:90], off offset:832
	global_load_dword v114, v[89:90], off offset:1152
	;; [unrolled: 1-line block ×6, first 2 shown]
	v_or_b32_e32 v89, 0x1400, v50
	s_clause 0x1
	global_load_dword v119, v[91:92], off offset:704
	global_load_dword v120, v89, s[2:3]
	ds_read_b32 v89, v53
	v_add_nc_u32_e32 v121, 0x1200, v53
	s_waitcnt lgkmcnt(0)
	v_lshrrev_b32_e32 v90, 16, v89
	s_waitcnt vmcnt(16)
	v_mul_f16_sdwa v91, v90, v93 dst_sel:DWORD dst_unused:UNUSED_PAD src0_sel:DWORD src1_sel:WORD_1
	v_mul_f16_sdwa v92, v89, v93 dst_sel:DWORD dst_unused:UNUSED_PAD src0_sel:DWORD src1_sel:WORD_1
	v_fma_f16 v89, v89, v93, -v91
	v_fmac_f16_e32 v92, v90, v93
	v_pack_b32_f16 v89, v89, v92
	ds_write_b32 v53, v89
	ds_read2_b32 v[89:90], v53 offset0:80 offset1:160
	ds_read2_b32 v[91:92], v66 offset0:112 offset1:192
	;; [unrolled: 1-line block ×8, first 2 shown]
	s_waitcnt lgkmcnt(7)
	v_lshrrev_b32_e32 v122, 16, v89
	s_waitcnt vmcnt(15)
	v_mul_f16_sdwa v123, v89, v105 dst_sel:DWORD dst_unused:UNUSED_PAD src0_sel:DWORD src1_sel:WORD_1
	v_lshrrev_b32_e32 v124, 16, v90
	s_waitcnt vmcnt(14)
	v_mul_f16_sdwa v125, v90, v106 dst_sel:DWORD dst_unused:UNUSED_PAD src0_sel:DWORD src1_sel:WORD_1
	s_waitcnt lgkmcnt(6)
	v_lshrrev_b32_e32 v126, 16, v91
	s_waitcnt vmcnt(13)
	v_mul_f16_sdwa v127, v91, v107 dst_sel:DWORD dst_unused:UNUSED_PAD src0_sel:DWORD src1_sel:WORD_1
	v_lshrrev_b32_e32 v128, 16, v92
	s_waitcnt vmcnt(12)
	v_mul_f16_sdwa v129, v92, v108 dst_sel:DWORD dst_unused:UNUSED_PAD src0_sel:DWORD src1_sel:WORD_1
	;; [unrolled: 7-line block ×3, first 2 shown]
	s_waitcnt lgkmcnt(4)
	v_lshrrev_b32_e32 v134, 16, v95
	s_waitcnt vmcnt(8)
	v_mul_f16_sdwa v135, v95, v112 dst_sel:DWORD dst_unused:UNUSED_PAD src0_sel:DWORD src1_sel:WORD_1
	v_lshrrev_b32_e32 v136, 16, v96
	v_mul_f16_sdwa v137, v96, v111 dst_sel:DWORD dst_unused:UNUSED_PAD src0_sel:DWORD src1_sel:WORD_1
	s_waitcnt lgkmcnt(3)
	v_lshrrev_b32_e32 v138, 16, v97
	s_waitcnt vmcnt(7)
	v_mul_f16_sdwa v139, v97, v113 dst_sel:DWORD dst_unused:UNUSED_PAD src0_sel:DWORD src1_sel:WORD_1
	v_lshrrev_b32_e32 v140, 16, v98
	s_waitcnt vmcnt(6)
	v_mul_f16_sdwa v141, v98, v114 dst_sel:DWORD dst_unused:UNUSED_PAD src0_sel:DWORD src1_sel:WORD_1
	s_waitcnt lgkmcnt(2)
	v_lshrrev_b32_e32 v142, 16, v99
	s_waitcnt vmcnt(5)
	v_mul_f16_sdwa v143, v99, v115 dst_sel:DWORD dst_unused:UNUSED_PAD src0_sel:DWORD src1_sel:WORD_1
	v_lshrrev_b32_e32 v144, 16, v100
	s_waitcnt vmcnt(2)
	v_mul_f16_sdwa v145, v100, v118 dst_sel:DWORD dst_unused:UNUSED_PAD src0_sel:DWORD src1_sel:WORD_1
	s_waitcnt lgkmcnt(1)
	v_lshrrev_b32_e32 v146, 16, v101
	v_mul_f16_sdwa v147, v101, v116 dst_sel:DWORD dst_unused:UNUSED_PAD src0_sel:DWORD src1_sel:WORD_1
	v_lshrrev_b32_e32 v148, 16, v102
	v_mul_f16_sdwa v149, v102, v117 dst_sel:DWORD dst_unused:UNUSED_PAD src0_sel:DWORD src1_sel:WORD_1
	s_waitcnt lgkmcnt(0)
	v_lshrrev_b32_e32 v150, 16, v103
	s_waitcnt vmcnt(1)
	v_mul_f16_sdwa v151, v103, v119 dst_sel:DWORD dst_unused:UNUSED_PAD src0_sel:DWORD src1_sel:WORD_1
	v_lshrrev_b32_e32 v152, 16, v104
	v_mul_f16_sdwa v154, v122, v105 dst_sel:DWORD dst_unused:UNUSED_PAD src0_sel:DWORD src1_sel:WORD_1
	v_fmac_f16_e32 v123, v122, v105
	v_mul_f16_sdwa v122, v124, v106 dst_sel:DWORD dst_unused:UNUSED_PAD src0_sel:DWORD src1_sel:WORD_1
	v_fmac_f16_e32 v125, v124, v106
	;; [unrolled: 2-line block ×9, first 2 shown]
	v_mul_f16_sdwa v138, v140, v114 dst_sel:DWORD dst_unused:UNUSED_PAD src0_sel:DWORD src1_sel:WORD_1
	s_waitcnt vmcnt(0)
	v_mul_f16_sdwa v153, v104, v120 dst_sel:DWORD dst_unused:UNUSED_PAD src0_sel:DWORD src1_sel:WORD_1
	v_fmac_f16_e32 v141, v140, v114
	v_mul_f16_sdwa v140, v142, v115 dst_sel:DWORD dst_unused:UNUSED_PAD src0_sel:DWORD src1_sel:WORD_1
	v_fmac_f16_e32 v143, v142, v115
	;; [unrolled: 2-line block ×6, first 2 shown]
	v_mul_f16_sdwa v150, v152, v120 dst_sel:DWORD dst_unused:UNUSED_PAD src0_sel:DWORD src1_sel:WORD_1
	v_fma_f16 v89, v89, v105, -v154
	v_fma_f16 v90, v90, v106, -v122
	;; [unrolled: 1-line block ×10, first 2 shown]
	v_fmac_f16_e32 v153, v152, v120
	v_fma_f16 v99, v99, v115, -v140
	v_fma_f16 v100, v100, v118, -v142
	;; [unrolled: 1-line block ×6, first 2 shown]
	v_pack_b32_f16 v89, v89, v123
	v_pack_b32_f16 v90, v90, v125
	;; [unrolled: 1-line block ×16, first 2 shown]
	ds_write2_b32 v53, v89, v90 offset0:80 offset1:160
	ds_write2_b32 v66, v91, v92 offset0:112 offset1:192
	;; [unrolled: 1-line block ×8, first 2 shown]
.LBB0_13:
	s_or_b32 exec_lo, exec_lo, s8
	s_waitcnt lgkmcnt(0)
	s_barrier
	buffer_gl0_inv
	s_and_saveexec_b32 s1, vcc_lo
	s_cbranch_execz .LBB0_15
; %bb.14:
	v_add_nc_u32_e32 v32, 0x200, v53
	v_add_nc_u32_e32 v33, 0x400, v53
	;; [unrolled: 1-line block ×3, first 2 shown]
	ds_read_b32 v70, v53
	ds_read2_b32 v[46:47], v53 offset0:80 offset1:160
	ds_read2_b32 v[42:43], v32 offset0:112 offset1:192
	v_add_nc_u32_e32 v32, 0xa00, v53
	ds_read2_b32 v[44:45], v33 offset0:144 offset1:224
	v_add_nc_u32_e32 v33, 0xc00, v53
	;; [unrolled: 2-line block ×4, first 2 shown]
	ds_read2_b32 v[38:39], v33 offset0:112 offset1:192
	ds_read2_b32 v[34:35], v34 offset0:16 offset1:96
	;; [unrolled: 1-line block ×3, first 2 shown]
	s_waitcnt lgkmcnt(8)
	v_lshrrev_b32_e32 v80, 16, v70
	s_waitcnt lgkmcnt(7)
	v_lshrrev_b32_e32 v85, 16, v46
	v_lshrrev_b32_e32 v83, 16, v47
	s_waitcnt lgkmcnt(6)
	v_lshrrev_b32_e32 v82, 16, v42
	;; [unrolled: 3-line block ×8, first 2 shown]
	v_lshrrev_b32_e32 v65, 16, v33
.LBB0_15:
	s_or_b32 exec_lo, exec_lo, s1
	v_sub_f16_e32 v184, v85, v65
	v_add_f16_e32 v115, v65, v85
	v_add_f16_e32 v106, v33, v46
	v_sub_f16_e32 v145, v46, v33
	v_add_f16_e32 v120, v68, v83
	v_mul_f16_e32 v87, 0xb5c8, v184
	v_mul_f16_e32 v88, 0x3b76, v115
	v_sub_f16_e32 v185, v83, v68
	v_add_f16_e32 v107, v32, v47
	v_mul_f16_e32 v99, 0xb964, v184
	v_fma_f16 v66, v106, 0x3b76, -v87
	v_fmamk_f16 v67, v145, 0xb5c8, v88
	v_mul_f16_e32 v104, 0x39e9, v115
	v_mul_f16_e32 v89, 0xb964, v185
	v_sub_f16_e32 v150, v47, v32
	v_mul_f16_e32 v90, 0x39e9, v120
	v_add_f16_e32 v66, v70, v66
	v_add_f16_e32 v67, v80, v67
	v_fma_f16 v84, v106, 0x39e9, -v99
	v_fmamk_f16 v86, v145, 0xb964, v104
	v_fma_f16 v91, v107, 0x39e9, -v89
	v_sub_f16_e32 v186, v82, v69
	v_fmamk_f16 v92, v150, 0xb964, v90
	v_mul_f16_e32 v102, 0xbbf7, v185
	v_mul_f16_e32 v110, 0x2de8, v120
	v_add_f16_e32 v127, v69, v82
	v_add_f16_e32 v84, v70, v84
	;; [unrolled: 1-line block ×5, first 2 shown]
	v_mul_f16_e32 v91, 0xbb29, v186
	v_add_f16_e32 v67, v92, v67
	v_fma_f16 v93, v107, 0x2de8, -v102
	v_fmamk_f16 v94, v150, 0xbbf7, v110
	v_sub_f16_e32 v152, v42, v35
	v_mul_f16_e32 v92, 0x3722, v127
	v_sub_f16_e32 v187, v79, v71
	v_fma_f16 v95, v111, 0x3722, -v91
	v_add_f16_e32 v84, v93, v84
	v_add_f16_e32 v86, v94, v86
	v_fmamk_f16 v94, v152, 0xbb29, v92
	v_mul_f16_e32 v108, 0xba62, v186
	v_mul_f16_e32 v112, 0xb8d2, v127
	v_add_f16_e32 v116, v34, v43
	v_mul_f16_e32 v93, 0xbbf7, v187
	v_add_f16_e32 v130, v71, v79
	v_add_f16_e32 v66, v95, v66
	;; [unrolled: 1-line block ×3, first 2 shown]
	v_fma_f16 v95, v111, 0xb8d2, -v108
	v_fmamk_f16 v96, v152, 0xba62, v112
	v_fma_f16 v97, v116, 0x2de8, -v93
	v_sub_f16_e32 v149, v43, v34
	v_mul_f16_e32 v94, 0x2de8, v130
	v_mul_f16_e32 v114, 0xb1e1, v187
	;; [unrolled: 1-line block ×3, first 2 shown]
	v_add_f16_e32 v131, v72, v81
	v_add_f16_e32 v84, v95, v84
	v_add_f16_e32 v86, v96, v86
	v_add_f16_e32 v66, v97, v66
	v_sub_f16_e32 v188, v81, v72
	v_fmamk_f16 v97, v149, 0xbbf7, v94
	v_fma_f16 v98, v116, 0xbbdd, -v114
	v_fmamk_f16 v100, v149, 0xb1e1, v117
	v_sub_f16_e32 v147, v44, v39
	v_mul_f16_e32 v96, 0xb461, v131
	v_add_f16_e32 v134, v73, v78
	v_add_f16_e32 v122, v39, v44
	v_mul_f16_e32 v95, 0xbbb2, v188
	v_add_f16_e32 v67, v97, v67
	v_add_f16_e32 v84, v98, v84
	;; [unrolled: 1-line block ×3, first 2 shown]
	v_fmamk_f16 v100, v147, 0xbbb2, v96
	v_sub_f16_e32 v193, v78, v73
	v_sub_f16_e32 v151, v45, v38
	v_mul_f16_e32 v98, 0xb8d2, v134
	v_fma_f16 v101, v122, 0xb461, -v95
	v_mul_f16_e32 v123, 0x3836, v188
	v_mul_f16_e32 v125, 0xbacd, v131
	v_add_f16_e32 v126, v38, v45
	v_mul_f16_e32 v97, 0xba62, v193
	v_add_f16_e32 v67, v100, v67
	v_fmamk_f16 v100, v151, 0xba62, v98
	v_sub_f16_e32 v198, v77, v74
	v_add_f16_e32 v66, v101, v66
	v_fma_f16 v101, v122, 0xbacd, -v123
	v_fmamk_f16 v103, v147, 0x3836, v125
	v_fma_f16 v105, v126, 0xb8d2, -v97
	v_mul_f16_e32 v109, 0x3bb2, v193
	v_add_f16_e32 v67, v100, v67
	v_add_f16_e32 v137, v74, v77
	;; [unrolled: 1-line block ×3, first 2 shown]
	v_mul_f16_e32 v100, 0xb836, v198
	v_add_f16_e32 v84, v101, v84
	v_add_f16_e32 v86, v103, v86
	;; [unrolled: 1-line block ×3, first 2 shown]
	v_mul_f16_e32 v128, 0xb461, v134
	v_fma_f16 v103, v126, 0xb461, -v109
	v_sub_f16_e32 v159, v40, v37
	v_mul_f16_e32 v101, 0xbacd, v137
	v_mul_f16_e32 v113, 0x3b29, v198
	v_fma_f16 v118, v129, 0xbacd, -v100
	v_fmamk_f16 v105, v151, 0x3bb2, v128
	v_add_f16_e32 v84, v103, v84
	v_fmamk_f16 v103, v159, 0xb836, v101
	v_fma_f16 v119, v129, 0x3722, -v113
	v_add_f16_e32 v66, v118, v66
	v_mul_f16_e32 v118, 0x3722, v137
	v_sub_f16_e32 v206, v76, v75
	v_add_f16_e32 v136, v75, v76
	v_add_f16_e32 v86, v105, v86
	;; [unrolled: 1-line block ×4, first 2 shown]
	v_fmamk_f16 v84, v159, 0x3b29, v118
	v_add_f16_e32 v119, v36, v41
	v_sub_f16_e32 v163, v41, v36
	v_mul_f16_e32 v103, 0xb1e1, v206
	v_mul_f16_e32 v105, 0xbbdd, v136
	;; [unrolled: 1-line block ×4, first 2 shown]
	v_add_f16_e32 v133, v84, v86
	v_fma_f16 v84, v119, 0xbbdd, -v103
	v_fmamk_f16 v86, v163, 0xb1e1, v105
	v_fma_f16 v135, v119, 0x3b76, -v121
	v_fmamk_f16 v138, v163, 0x35c8, v124
	v_add_f16_e32 v84, v84, v66
	v_add_f16_e32 v86, v86, v67
	;; [unrolled: 1-line block ×4, first 2 shown]
	s_barrier
	buffer_gl0_inv
	s_and_saveexec_b32 s1, vcc_lo
	s_cbranch_execz .LBB0_17
; %bb.16:
	v_mul_f16_e32 v161, 0xbb29, v145
	v_mul_f16_e32 v160, 0xba62, v150
	;; [unrolled: 1-line block ×5, first 2 shown]
	v_fmamk_f16 v132, v115, 0x3722, v161
	v_fmamk_f16 v133, v120, 0xb8d2, v160
	;; [unrolled: 1-line block ×3, first 2 shown]
	v_mul_f16_e32 v156, 0x3964, v147
	v_mul_f16_e32 v144, 0xba62, v185
	v_add_f16_e32 v132, v80, v132
	v_fma_f16 v138, v106, 0x3722, -v155
	v_mul_f16_e32 v148, 0xb5c8, v151
	v_mul_f16_e32 v143, 0x31e1, v186
	;; [unrolled: 1-line block ×3, first 2 shown]
	v_add_f16_e32 v132, v133, v132
	v_fmamk_f16 v133, v130, 0xb461, v157
	v_fma_f16 v153, v107, 0xb8d2, -v144
	v_add_f16_e32 v138, v70, v138
	v_mul_f16_e32 v146, 0xbbf7, v159
	v_add_f16_e32 v132, v135, v132
	v_fmamk_f16 v135, v131, 0x39e9, v156
	v_mul_f16_e32 v141, 0x3bb2, v187
	v_mul_f16_e32 v171, 0xb1e1, v150
	v_fma_f16 v154, v111, 0xbbdd, -v143
	v_add_f16_e32 v132, v133, v132
	v_fmamk_f16 v133, v134, 0x3b76, v148
	v_add_f16_e32 v138, v153, v138
	v_mul_f16_e32 v140, 0x3964, v188
	v_mul_f16_e32 v168, 0x3bb2, v152
	v_add_f16_e32 v132, v135, v132
	v_fmamk_f16 v135, v115, 0x2de8, v172
	v_fmamk_f16 v139, v137, 0x2de8, v146
	;; [unrolled: 1-line block ×3, first 2 shown]
	v_add_f16_e32 v138, v154, v138
	v_add_f16_e32 v132, v133, v132
	;; [unrolled: 1-line block ×3, first 2 shown]
	v_fma_f16 v135, v116, 0xb461, -v141
	v_mul_f16_e32 v170, 0x35c8, v149
	v_mul_f16_e32 v153, 0xb5c8, v193
	v_add_f16_e32 v132, v139, v132
	v_add_f16_e32 v133, v162, v133
	v_fmamk_f16 v139, v127, 0xb461, v168
	v_add_f16_e32 v135, v135, v138
	v_fma_f16 v138, v122, 0x39e9, -v140
	v_mul_f16_e32 v165, 0xbb29, v147
	v_mul_f16_e32 v154, 0xbbf7, v198
	v_add_f16_e32 v133, v139, v133
	v_fmamk_f16 v139, v130, 0x3b76, v170
	v_add_f16_e32 v135, v138, v135
	v_fma_f16 v138, v126, 0x3b76, -v153
	v_mul_f16_e32 v166, 0xb836, v151
	v_fma_f16 v162, v129, 0x2de8, -v154
	v_add_f16_e32 v133, v139, v133
	v_fmamk_f16 v139, v131, 0x3722, v165
	v_add_f16_e32 v138, v138, v135
	v_mul_f16_e32 v135, 0xb836, v206
	v_mul_f16_e32 v177, 0xbbf7, v184
	;; [unrolled: 1-line block ×3, first 2 shown]
	v_add_f16_e32 v133, v139, v133
	v_fmamk_f16 v139, v134, 0xbacd, v166
	v_add_f16_e32 v138, v162, v138
	v_fma_f16 v162, v119, 0xbacd, -v135
	v_mul_f16_e32 v200, 0xbbb2, v145
	v_mul_f16_e32 v178, 0x3bb2, v186
	v_add_f16_e32 v139, v139, v133
	v_mul_f16_e32 v199, 0x3836, v150
	v_add_f16_e32 v133, v162, v138
	v_fma_f16 v138, v106, 0x2de8, -v177
	v_fma_f16 v162, v107, 0xbbdd, -v174
	v_fmamk_f16 v173, v115, 0xb461, v200
	v_mul_f16_e32 v179, 0x35c8, v187
	v_fmamk_f16 v175, v120, 0xbacd, v199
	v_add_f16_e32 v138, v70, v138
	v_mul_f16_e32 v195, 0x3964, v152
	v_add_f16_e32 v173, v80, v173
	v_mul_f16_e32 v180, 0xbb29, v188
	v_mul_f16_e32 v167, 0x3a62, v159
	v_add_f16_e32 v138, v162, v138
	v_fma_f16 v162, v111, 0xb461, -v178
	v_add_f16_e32 v173, v175, v173
	v_fmamk_f16 v175, v127, 0x39e9, v195
	v_mul_f16_e32 v194, 0xbb29, v149
	v_mul_f16_e32 v181, 0xb836, v193
	v_add_f16_e32 v138, v162, v138
	v_fma_f16 v162, v116, 0x3b76, -v179
	v_mul_f16_e32 v142, 0xb836, v163
	v_fmamk_f16 v169, v137, 0xb8d2, v167
	v_add_f16_e32 v173, v175, v173
	v_fmamk_f16 v175, v130, 0x3722, v194
	v_add_f16_e32 v138, v162, v138
	v_fma_f16 v162, v122, 0x3722, -v180
	v_mul_f16_e32 v192, 0xb1e1, v147
	v_mul_f16_e32 v176, 0x3a62, v198
	v_fmamk_f16 v164, v136, 0xbacd, v142
	v_add_f16_e32 v139, v169, v139
	v_add_f16_e32 v138, v162, v138
	v_fma_f16 v162, v126, 0xbacd, -v181
	v_mul_f16_e32 v169, 0x3964, v163
	v_add_f16_e32 v175, v175, v173
	v_fmamk_f16 v182, v131, 0xbbdd, v192
	v_mul_f16_e32 v189, 0x3bf7, v151
	v_add_f16_e32 v138, v162, v138
	v_fma_f16 v162, v129, 0xb8d2, -v176
	v_mul_f16_e32 v173, 0x3964, v206
	v_add_f16_e32 v132, v164, v132
	v_fmamk_f16 v164, v136, 0x39e9, v169
	v_add_f16_e32 v175, v182, v175
	v_fmamk_f16 v182, v134, 0x2de8, v189
	v_mul_f16_e32 v190, 0xb5c8, v159
	v_add_f16_e32 v162, v162, v138
	v_fma_f16 v183, v119, 0x39e9, -v173
	v_mul_f16_e32 v204, 0xbbb2, v184
	v_add_f16_e32 v175, v182, v175
	v_fmamk_f16 v182, v137, 0x3b76, v190
	v_add_f16_e32 v138, v164, v139
	v_add_f16_e32 v139, v183, v162
	v_fma_f16 v162, v106, 0xb461, -v204
	v_mul_f16_e32 v203, 0x3836, v185
	v_mul_f16_e32 v208, 0xba62, v145
	v_add_f16_e32 v164, v182, v175
	v_mul_f16_e32 v207, 0x3964, v186
	v_add_f16_e32 v162, v70, v162
	v_fma_f16 v175, v107, 0xbacd, -v203
	v_fmamk_f16 v183, v115, 0xb8d2, v208
	v_mul_f16_e32 v209, 0x3bb2, v150
	v_mul_f16_e32 v205, 0xbb29, v187
	v_mul_f16_e32 v210, 0xb5c8, v152
	v_add_f16_e32 v162, v175, v162
	v_fma_f16 v175, v111, 0x39e9, -v207
	v_add_f16_e32 v183, v80, v183
	v_fmamk_f16 v196, v120, 0xb461, v209
	v_mul_f16_e32 v201, 0xb1e1, v188
	v_mul_f16_e32 v211, 0xb836, v149
	v_add_f16_e32 v162, v175, v162
	v_fma_f16 v175, v116, 0x3722, -v205
	v_add_f16_e32 v183, v196, v183
	v_fmamk_f16 v196, v127, 0x3b76, v210
	v_mul_f16_e32 v202, 0x3bf7, v193
	v_fmamk_f16 v197, v130, 0xbacd, v211
	v_add_f16_e32 v162, v175, v162
	v_fma_f16 v175, v122, 0xbbdd, -v201
	v_add_f16_e32 v183, v196, v183
	v_mul_f16_e32 v212, 0x3bf7, v147
	v_mul_f16_e32 v191, 0xba62, v163
	;; [unrolled: 1-line block ×3, first 2 shown]
	v_add_f16_e32 v162, v175, v162
	v_fma_f16 v175, v126, 0x2de8, -v202
	v_add_f16_e32 v183, v197, v183
	v_fmamk_f16 v213, v131, 0x2de8, v212
	v_mul_f16_e32 v214, 0xb964, v151
	v_fmamk_f16 v182, v136, 0xb8d2, v191
	v_add_f16_e32 v162, v175, v162
	v_fma_f16 v175, v129, 0x3b76, -v196
	v_mul_f16_e32 v197, 0xba62, v206
	v_add_f16_e32 v183, v213, v183
	v_fmamk_f16 v213, v134, 0x39e9, v214
	v_mul_f16_e32 v217, 0xba62, v184
	v_add_f16_e32 v175, v175, v162
	v_fma_f16 v216, v119, 0xb8d2, -v197
	v_add_f16_e32 v162, v182, v164
	v_add_f16_e32 v182, v213, v183
	v_mul_f16_e32 v213, 0xb836, v145
	v_fma_f16 v218, v106, 0xb8d2, -v217
	v_mul_f16_e32 v219, 0x3bb2, v185
	v_add_f16_e32 v164, v216, v175
	v_mul_f16_e32 v216, 0x3b29, v150
	v_fmamk_f16 v175, v115, 0xbacd, v213
	v_add_f16_e32 v218, v70, v218
	v_fma_f16 v220, v107, 0xb461, -v219
	v_mul_f16_e32 v221, 0xb5c8, v186
	v_fmamk_f16 v222, v120, 0x3722, v216
	v_add_f16_e32 v175, v80, v175
	v_mul_f16_e32 v223, 0xbbf7, v152
	v_add_f16_e32 v218, v220, v218
	v_fma_f16 v220, v111, 0x3b76, -v221
	v_mul_f16_e32 v224, 0xb836, v187
	v_mul_f16_e32 v215, 0xb1e1, v159
	v_add_f16_e32 v175, v222, v175
	v_fmamk_f16 v222, v127, 0x2de8, v223
	v_mul_f16_e32 v225, 0x3a62, v149
	v_add_f16_e32 v218, v220, v218
	v_fma_f16 v220, v116, 0xbacd, -v224
	v_mul_f16_e32 v226, 0x3bf7, v188
	v_fmamk_f16 v183, v137, 0xbbdd, v215
	v_add_f16_e32 v175, v222, v175
	v_fmamk_f16 v222, v130, 0xb8d2, v225
	v_mul_f16_e32 v227, 0xb5c8, v147
	v_add_f16_e32 v218, v220, v218
	v_fma_f16 v220, v122, 0x2de8, -v226
	v_mul_f16_e32 v228, 0xb964, v193
	v_add_f16_e32 v182, v183, v182
	v_add_f16_e32 v175, v222, v175
	v_fmamk_f16 v183, v131, 0x3b76, v227
	v_add_f16_e32 v218, v220, v218
	v_mul_f16_e32 v220, 0xb1e1, v151
	v_fma_f16 v222, v126, 0x39e9, -v228
	v_mul_f16_e32 v229, 0x3b29, v163
	v_mul_f16_e32 v230, 0xb836, v184
	v_add_f16_e32 v175, v183, v175
	v_fmamk_f16 v183, v134, 0xbbdd, v220
	v_add_f16_e32 v218, v222, v218
	v_fmamk_f16 v222, v136, 0x3722, v229
	v_fma_f16 v231, v106, 0xbacd, -v230
	v_mul_f16_e32 v232, 0x3b29, v185
	v_add_f16_e32 v183, v183, v175
	v_mul_f16_e32 v233, 0xb1e1, v198
	v_add_f16_e32 v175, v222, v182
	v_add_f16_e32 v182, v70, v231
	v_fma_f16 v222, v107, 0x3722, -v232
	v_mul_f16_e32 v231, 0xbbf7, v186
	v_fma_f16 v234, v129, 0xbbdd, -v233
	v_mul_f16_e32 v235, 0x3964, v159
	v_mul_f16_e32 v236, 0x3b29, v206
	v_add_f16_e32 v182, v222, v182
	v_fma_f16 v222, v111, 0x2de8, -v231
	v_mul_f16_e32 v237, 0x3a62, v187
	v_add_f16_e32 v218, v234, v218
	v_fmamk_f16 v234, v137, 0x39e9, v235
	v_fma_f16 v238, v119, 0x3722, -v236
	v_add_f16_e32 v222, v222, v182
	v_fma_f16 v239, v116, 0xb8d2, -v237
	v_mul_f16_e32 v240, 0xb5c8, v188
	v_add_f16_e32 v183, v234, v183
	v_add_f16_e32 v182, v238, v218
	v_mul_f16_e32 v218, 0xb1e1, v145
	v_add_f16_e32 v222, v239, v222
	v_fma_f16 v234, v122, 0x3b76, -v240
	v_mul_f16_e32 v238, 0xb1e1, v193
	v_mul_f16_e32 v242, 0x35c8, v150
	v_fmamk_f16 v241, v115, 0xbbdd, v218
	v_mul_f16_e32 v243, 0x3964, v198
	v_add_f16_e32 v222, v234, v222
	v_fma_f16 v234, v126, 0xbbdd, -v238
	v_mul_f16_e32 v239, 0xbbb2, v163
	v_add_f16_e32 v241, v80, v241
	v_fmamk_f16 v244, v120, 0x3b76, v242
	v_mul_f16_e32 v245, 0xb836, v152
	v_add_f16_e32 v222, v234, v222
	v_fma_f16 v234, v129, 0x39e9, -v243
	v_fmamk_f16 v246, v136, 0xb461, v239
	v_add_f16_e32 v241, v244, v241
	v_fmamk_f16 v244, v127, 0xbacd, v245
	v_mul_f16_e32 v247, 0x3964, v149
	v_add_f16_e32 v222, v234, v222
	v_mul_f16_e32 v234, 0xb1e1, v184
	v_add_f16_e32 v183, v246, v183
	v_add_f16_e32 v184, v244, v241
	v_fmamk_f16 v241, v130, 0x39e9, v247
	v_mul_f16_e32 v244, 0xba62, v147
	v_mul_f16_e32 v246, 0xbbb2, v206
	v_fma_f16 v248, v106, 0xbbdd, -v234
	v_mul_f16_e32 v249, 0x35c8, v185
	v_add_f16_e32 v184, v241, v184
	v_fmamk_f16 v185, v131, 0xb8d2, v244
	v_mul_f16_e32 v241, 0x3b29, v151
	v_add_f16_e32 v248, v70, v248
	v_fma_f16 v250, v107, 0x3b76, -v249
	v_mul_f16_e32 v251, 0xb836, v186
	v_fma_f16 v186, v119, 0xb461, -v246
	v_add_f16_e32 v185, v185, v184
	v_fmamk_f16 v252, v134, 0x3722, v241
	v_add_f16_e32 v248, v250, v248
	v_fma_f16 v250, v111, 0xbacd, -v251
	v_mul_f16_e32 v253, 0x3964, v187
	v_add_f16_e32 v184, v186, v222
	v_fma_f16 v186, v115, 0xbbdd, -v218
	v_add_f16_e32 v187, v252, v185
	v_add_f16_e32 v185, v250, v248
	v_fma_f16 v218, v116, 0x39e9, -v253
	v_mul_f16_e32 v222, 0xba62, v188
	v_add_f16_e32 v186, v80, v186
	v_fma_f16 v188, v120, 0x3b76, -v242
	v_fma_f16 v208, v115, 0xb8d2, -v208
	v_mul_f16_e32 v242, 0xbbb2, v159
	v_add_f16_e32 v185, v218, v185
	v_fma_f16 v218, v122, 0xb8d2, -v222
	v_mul_f16_e32 v193, 0x3b29, v193
	v_add_f16_e32 v186, v188, v186
	v_fma_f16 v188, v127, 0xbacd, -v245
	v_add_f16_e32 v208, v80, v208
	v_fma_f16 v209, v120, 0xb461, -v209
	v_fmamk_f16 v245, v137, 0xb461, v242
	v_add_f16_e32 v185, v218, v185
	v_fma_f16 v218, v126, 0x3722, -v193
	v_mul_f16_e32 v198, 0xbbb2, v198
	v_add_f16_e32 v186, v188, v186
	v_fma_f16 v188, v130, 0x39e9, -v247
	v_mul_f16_e32 v247, 0x3bf7, v163
	v_add_f16_e32 v208, v209, v208
	v_fma_f16 v209, v127, 0x3b76, -v210
	v_add_f16_e32 v218, v218, v185
	v_fma_f16 v248, v129, 0xb461, -v198
	v_mul_f16_e32 v185, 0x3bf7, v206
	v_add_f16_e32 v186, v188, v186
	v_fma_f16 v188, v131, 0xb8d2, -v244
	v_add_f16_e32 v187, v245, v187
	v_fmamk_f16 v206, v136, 0x2de8, v247
	v_add_f16_e32 v208, v209, v208
	v_fma_f16 v211, v130, 0xbacd, -v211
	v_add_f16_e32 v218, v248, v218
	v_fma_f16 v244, v119, 0x2de8, -v185
	;; [unrolled: 2-line block ×3, first 2 shown]
	v_add_f16_e32 v186, v206, v187
	v_fmac_f16_e32 v234, 0xbbdd, v106
	v_fma_f16 v206, v115, 0xbacd, -v213
	v_mul_f16_e32 v209, 0x39e9, v106
	v_add_f16_e32 v208, v211, v208
	v_fma_f16 v211, v131, 0x2de8, -v212
	v_fmac_f16_e32 v217, 0xb8d2, v106
	v_add_f16_e32 v187, v244, v218
	v_add_f16_e32 v188, v241, v188
	v_fma_f16 v213, v137, 0xb461, -v242
	v_add_f16_e32 v218, v70, v234
	v_fmac_f16_e32 v249, 0x3b76, v107
	v_add_f16_e32 v206, v80, v206
	v_fma_f16 v216, v120, 0x3722, -v216
	v_mul_f16_e32 v212, 0x2de8, v107
	v_add_f16_e32 v208, v211, v208
	v_fma_f16 v214, v134, 0x39e9, -v214
	v_add_f16_e32 v217, v70, v217
	v_fmac_f16_e32 v219, 0xb461, v107
	v_add_f16_e32 v99, v209, v99
	v_add_f16_e32 v46, v46, v70
	;; [unrolled: 1-line block ×3, first 2 shown]
	v_fma_f16 v172, v115, 0x2de8, -v172
	v_add_f16_e32 v188, v213, v188
	v_fma_f16 v213, v136, 0x2de8, -v247
	v_add_f16_e32 v218, v249, v218
	v_fmac_f16_e32 v251, 0xbacd, v111
	v_add_f16_e32 v206, v216, v206
	v_fma_f16 v216, v127, 0x2de8, -v223
	v_fmac_f16_e32 v230, 0xbacd, v106
	v_add_f16_e32 v208, v214, v208
	v_mul_f16_e32 v214, 0xb8d2, v111
	v_add_f16_e32 v217, v219, v217
	v_fmac_f16_e32 v221, 0x3b76, v111
	v_fma_f16 v200, v115, 0xb461, -v200
	v_add_f16_e32 v99, v70, v99
	v_add_f16_e32 v102, v212, v102
	;; [unrolled: 1-line block ×5, first 2 shown]
	v_fma_f16 v171, v120, 0xbbdd, -v171
	v_add_f16_e32 v188, v213, v188
	v_add_f16_e32 v213, v251, v218
	v_fmac_f16_e32 v253, 0x39e9, v116
	v_add_f16_e32 v206, v216, v206
	v_fma_f16 v216, v130, 0xb8d2, -v225
	v_add_f16_e32 v218, v70, v230
	v_fmac_f16_e32 v232, 0x3722, v107
	v_add_f16_e32 v217, v221, v217
	v_mul_f16_e32 v221, 0xbbdd, v116
	v_add_f16_e32 v200, v80, v200
	v_fma_f16 v199, v120, 0xbacd, -v199
	v_fmac_f16_e32 v204, 0xb461, v106
	v_add_f16_e32 v99, v102, v99
	v_add_f16_e32 v102, v214, v108
	v_add_f16_e32 v42, v42, v46
	v_add_f16_e32 v46, v82, v47
	v_fmac_f16_e32 v177, 0x2de8, v106
	v_add_f16_e32 v171, v171, v172
	v_fma_f16 v168, v127, 0xb461, -v168
	v_add_f16_e32 v213, v253, v213
	v_fmac_f16_e32 v222, 0xb8d2, v122
	v_add_f16_e32 v206, v216, v206
	v_fma_f16 v216, v131, 0x3b76, -v227
	v_add_f16_e32 v218, v232, v218
	v_fmac_f16_e32 v231, 0x2de8, v111
	v_add_f16_e32 v199, v199, v200
	v_mul_f16_e32 v200, 0xbacd, v122
	v_add_f16_e32 v204, v70, v204
	v_fmac_f16_e32 v203, 0xbacd, v107
	v_add_f16_e32 v99, v102, v99
	v_add_f16_e32 v102, v221, v114
	;; [unrolled: 1-line block ×5, first 2 shown]
	v_fmac_f16_e32 v174, 0xbbdd, v107
	v_add_f16_e32 v168, v168, v171
	v_fma_f16 v170, v130, 0x3b76, -v170
	v_fma_f16 v115, v115, 0x3722, -v161
	v_add_f16_e32 v213, v222, v213
	v_fmac_f16_e32 v193, 0x3722, v126
	v_add_f16_e32 v206, v216, v206
	v_fma_f16 v216, v134, 0xbbdd, -v220
	v_add_f16_e32 v218, v231, v218
	v_fmac_f16_e32 v237, 0xb8d2, v116
	v_add_f16_e32 v203, v203, v204
	v_mul_f16_e32 v204, 0xb461, v126
	v_fmac_f16_e32 v207, 0x39e9, v111
	v_add_f16_e32 v99, v102, v99
	v_add_f16_e32 v102, v200, v123
	;; [unrolled: 1-line block ×5, first 2 shown]
	v_fmac_f16_e32 v178, 0xb461, v111
	v_add_f16_e32 v168, v170, v168
	v_fma_f16 v165, v131, 0x3722, -v165
	v_add_f16_e32 v115, v80, v115
	v_fma_f16 v120, v120, 0xb8d2, -v160
	v_add_f16_e32 v193, v193, v213
	v_fmac_f16_e32 v198, 0xb461, v129
	v_add_f16_e32 v206, v216, v206
	v_add_f16_e32 v213, v237, v218
	v_fmac_f16_e32 v240, 0x3b76, v122
	v_fma_f16 v216, v137, 0x39e9, -v235
	v_add_f16_e32 v203, v207, v203
	v_mul_f16_e32 v207, 0x3722, v129
	v_add_f16_e32 v99, v102, v99
	v_add_f16_e32 v102, v204, v109
	;; [unrolled: 1-line block ×5, first 2 shown]
	v_fmac_f16_e32 v179, 0x3b76, v116
	v_add_f16_e32 v161, v165, v168
	v_fma_f16 v165, v134, 0xbacd, -v166
	v_add_f16_e32 v115, v120, v115
	v_fma_f16 v120, v127, 0xbbdd, -v158
	v_add_f16_e32 v193, v198, v193
	v_add_f16_e32 v198, v240, v213
	;; [unrolled: 1-line block ×3, first 2 shown]
	v_mul_f16_e32 v210, 0x3b76, v106
	v_mul_f16_e32 v213, 0xb5c8, v145
	v_fma_f16 v216, v136, 0xb461, -v239
	v_mul_f16_e32 v145, 0xb964, v145
	v_add_f16_e32 v99, v102, v99
	v_add_f16_e32 v47, v207, v113
	;; [unrolled: 1-line block ×4, first 2 shown]
	v_fma_f16 v195, v127, 0x39e9, -v195
	v_add_f16_e32 v127, v179, v160
	v_add_f16_e32 v158, v165, v161
	v_fma_f16 v160, v137, 0xb8d2, -v167
	v_add_f16_e32 v115, v120, v115
	v_fma_f16 v120, v130, 0xb461, -v157
	v_add_f16_e32 v206, v216, v206
	v_mul_f16_e32 v216, 0x39e9, v107
	v_mul_f16_e32 v218, 0xb964, v150
	v_sub_f16_e32 v104, v104, v145
	v_add_f16_e32 v46, v47, v99
	v_sub_f16_e32 v47, v88, v213
	v_add_f16_e32 v44, v210, v87
	v_add_f16_e32 v40, v41, v40
	;; [unrolled: 1-line block ×3, first 2 shown]
	v_mul_f16_e32 v150, 0xbbf7, v150
	v_fma_f16 v194, v130, 0x3722, -v194
	v_add_f16_e32 v130, v160, v158
	v_fma_f16 v157, v136, 0x39e9, -v169
	v_add_f16_e32 v115, v120, v115
	v_fma_f16 v120, v131, 0x39e9, -v156
	v_fmac_f16_e32 v155, 0x3722, v106
	v_mul_f16_e32 v211, 0x3722, v111
	v_mul_f16_e32 v220, 0xbb29, v152
	v_fma_f16 v215, v137, 0xbbdd, -v215
	v_add_f16_e32 v104, v80, v104
	v_add_f16_e32 v47, v80, v47
	v_sub_f16_e32 v80, v90, v218
	v_add_f16_e32 v44, v70, v44
	v_add_f16_e32 v45, v216, v89
	;; [unrolled: 1-line block ×4, first 2 shown]
	v_mul_f16_e32 v152, 0xba62, v152
	v_add_f16_e32 v106, v157, v130
	v_add_f16_e32 v115, v120, v115
	v_fma_f16 v120, v134, 0x3b76, -v148
	v_add_f16_e32 v130, v70, v155
	v_fmac_f16_e32 v144, 0xb8d2, v107
	v_sub_f16_e32 v110, v110, v150
	v_mul_f16_e32 v219, 0x2de8, v116
	v_add_f16_e32 v208, v215, v208
	v_mul_f16_e32 v215, 0xbbf7, v149
	v_fma_f16 v222, v136, 0x3722, -v229
	v_add_f16_e32 v47, v80, v47
	v_sub_f16_e32 v43, v92, v220
	v_add_f16_e32 v44, v45, v44
	v_add_f16_e32 v45, v211, v91
	;; [unrolled: 1-line block ×4, first 2 shown]
	v_mul_f16_e32 v149, 0xb1e1, v149
	v_add_f16_e32 v107, v120, v115
	v_fma_f16 v115, v137, 0x2de8, -v146
	v_add_f16_e32 v120, v144, v130
	v_fmac_f16_e32 v143, 0xbbdd, v111
	v_add_f16_e32 v104, v110, v104
	v_sub_f16_e32 v110, v112, v152
	v_add_f16_e32 v195, v195, v199
	v_fmac_f16_e32 v224, 0xbacd, v116
	v_add_f16_e32 v208, v222, v208
	v_mul_f16_e32 v222, 0xb461, v122
	v_mul_f16_e32 v223, 0xbbb2, v147
	v_add_f16_e32 v42, v43, v47
	v_sub_f16_e32 v43, v94, v215
	v_add_f16_e32 v44, v45, v44
	v_add_f16_e32 v41, v219, v93
	;; [unrolled: 1-line block ×4, first 2 shown]
	v_mul_f16_e32 v147, 0x3836, v147
	v_add_f16_e32 v107, v115, v107
	v_add_f16_e32 v115, v143, v120
	v_fmac_f16_e32 v141, 0xb461, v116
	v_add_f16_e32 v104, v110, v104
	v_sub_f16_e32 v110, v117, v149
	v_add_f16_e32 v194, v194, v195
	v_fma_f16 v192, v131, 0xbbdd, -v192
	v_fmac_f16_e32 v205, 0x3722, v116
	v_add_f16_e32 v217, v224, v217
	v_mul_f16_e32 v224, 0xb8d2, v126
	v_mul_f16_e32 v199, 0xba62, v151
	v_add_f16_e32 v42, v43, v42
	v_sub_f16_e32 v43, v96, v223
	v_add_f16_e32 v40, v41, v44
	v_add_f16_e32 v41, v222, v95
	;; [unrolled: 1-line block ×4, first 2 shown]
	v_mul_f16_e32 v151, 0x3bb2, v151
	v_add_f16_e32 v112, v141, v115
	v_fmac_f16_e32 v140, 0x39e9, v122
	v_add_f16_e32 v104, v110, v104
	v_sub_f16_e32 v108, v125, v147
	v_add_f16_e32 v192, v192, v194
	v_add_f16_e32 v203, v205, v203
	v_fma_f16 v189, v134, 0x2de8, -v189
	v_fmac_f16_e32 v201, 0xbbdd, v122
	v_fmac_f16_e32 v180, 0x3722, v122
	;; [unrolled: 1-line block ×3, first 2 shown]
	v_mul_f16_e32 v195, 0xbacd, v129
	v_mul_f16_e32 v225, 0xb836, v159
	v_add_f16_e32 v42, v43, v42
	v_sub_f16_e32 v38, v98, v199
	v_add_f16_e32 v40, v41, v40
	v_add_f16_e32 v41, v224, v97
	;; [unrolled: 1-line block ×4, first 2 shown]
	v_mul_f16_e32 v159, 0x3b29, v159
	v_add_f16_e32 v112, v140, v112
	v_fmac_f16_e32 v153, 0x3b76, v126
	v_add_f16_e32 v104, v108, v104
	v_sub_f16_e32 v108, v128, v151
	v_add_f16_e32 v189, v189, v192
	v_fma_f16 v190, v137, 0x3b76, -v190
	v_add_f16_e32 v201, v201, v203
	v_fmac_f16_e32 v202, 0x2de8, v126
	v_add_f16_e32 v127, v180, v127
	v_fmac_f16_e32 v181, 0xbacd, v126
	v_fmac_f16_e32 v238, 0xbbdd, v126
	v_add_f16_e32 v217, v226, v217
	v_fmac_f16_e32 v228, 0x39e9, v126
	v_mul_f16_e32 v194, 0xbbdd, v119
	v_mul_f16_e32 v226, 0xb1e1, v163
	v_add_f16_e32 v38, v38, v42
	v_sub_f16_e32 v39, v101, v225
	v_add_f16_e32 v40, v41, v40
	v_add_f16_e32 v37, v195, v100
	;; [unrolled: 1-line block ×4, first 2 shown]
	v_mul_f16_e32 v205, 0x3b76, v119
	v_mul_f16_e32 v163, 0x35c8, v163
	v_add_f16_e32 v110, v153, v112
	v_fmac_f16_e32 v154, 0x2de8, v129
	v_add_f16_e32 v104, v108, v104
	v_sub_f16_e32 v108, v118, v159
	v_add_f16_e32 v189, v190, v189
	v_fma_f16 v190, v136, 0xb8d2, -v191
	v_add_f16_e32 v191, v202, v201
	v_fmac_f16_e32 v196, 0x3b76, v129
	v_add_f16_e32 v127, v181, v127
	v_fmac_f16_e32 v176, 0xb8d2, v129
	;; [unrolled: 2-line block ×4, first 2 shown]
	v_add_f16_e32 v38, v39, v38
	v_sub_f16_e32 v39, v105, v226
	v_add_f16_e32 v36, v37, v40
	v_add_f16_e32 v37, v194, v103
	v_mul_lo_u16 v40, v51, 17
	v_add_f16_e32 v32, v32, v34
	v_add_f16_e32 v34, v68, v35
	v_fma_f16 v116, v136, 0xbacd, -v142
	v_add_f16_e32 v110, v154, v110
	v_add_f16_e32 v83, v108, v104
	v_sub_f16_e32 v85, v124, v163
	v_fmac_f16_e32 v135, 0xbacd, v119
	v_add_f16_e32 v79, v205, v121
	v_add_f16_e32 v172, v196, v191
	v_fmac_f16_e32 v197, 0xb8d2, v119
	v_add_f16_e32 v127, v176, v127
	v_fmac_f16_e32 v173, 0x39e9, v119
	;; [unrolled: 2-line block ×4, first 2 shown]
	v_fmac_f16_e32 v185, 0x2de8, v119
	v_add_f16_e32 v35, v39, v38
	v_add_f16_e32 v36, v37, v36
	v_and_b32_e32 v37, 0xffff, v40
	v_add_f16_e32 v32, v33, v32
	v_add_f16_e32 v33, v65, v34
	;; [unrolled: 1-line block ×11, first 2 shown]
	v_lshl_add_u32 v37, v37, 2, v52
	v_pack_b32_f16 v35, v36, v35
	v_pack_b32_f16 v32, v32, v33
	v_add_f16_e32 v41, v185, v193
	v_pack_b32_f16 v33, v34, v82
	v_pack_b32_f16 v34, v38, v107
	;; [unrolled: 1-line block ×6, first 2 shown]
	ds_write2_b32 v37, v32, v35 offset1:1
	ds_write2_b32 v37, v33, v34 offset0:2 offset1:3
	ds_write2_b32 v37, v38, v36 offset0:4 offset1:5
	;; [unrolled: 1-line block ×3, first 2 shown]
	v_pack_b32_f16 v32, v187, v186
	v_pack_b32_f16 v33, v41, v188
	;; [unrolled: 1-line block ×7, first 2 shown]
	v_perm_b32 v40, v67, v66, 0x5040100
	v_perm_b32 v41, v86, v84, 0x5040100
	ds_write2_b32 v37, v33, v32 offset0:8 offset1:9
	ds_write2_b32 v37, v35, v34 offset0:10 offset1:11
	;; [unrolled: 1-line block ×4, first 2 shown]
	ds_write_b32 v37, v41 offset:64
.LBB0_17:
	s_or_b32 exec_lo, exec_lo, s1
	v_add_nc_u32_e32 v36, 0x800, v54
	v_add_nc_u32_e32 v32, 0x200, v54
	;; [unrolled: 1-line block ×6, first 2 shown]
	s_waitcnt lgkmcnt(0)
	s_barrier
	buffer_gl0_inv
	ds_read2_b32 v[34:35], v54 offset1:85
	ds_read2_b32 v[32:33], v32 offset0:42 offset1:144
	ds_read2_b32 v[44:45], v36 offset0:32 offset1:117
	;; [unrolled: 1-line block ×6, first 2 shown]
	ds_read_b32 v46, v54 offset:5032
	s_and_saveexec_b32 s1, s0
	s_cbranch_execz .LBB0_19
; %bb.18:
	ds_read_b32 v66, v54 offset:1020
	ds_read_b32 v84, v54 offset:2108
	;; [unrolled: 1-line block ×5, first 2 shown]
	s_waitcnt lgkmcnt(4)
	v_lshrrev_b32_e32 v67, 16, v66
	s_waitcnt lgkmcnt(3)
	v_lshrrev_b32_e32 v86, 16, v84
	;; [unrolled: 2-line block ×5, first 2 shown]
.LBB0_19:
	s_or_b32 exec_lo, exec_lo, s1
	s_waitcnt lgkmcnt(6)
	v_lshrrev_b32_e32 v65, 16, v33
	s_waitcnt lgkmcnt(4)
	v_lshrrev_b32_e32 v69, 16, v39
	v_lshrrev_b32_e32 v68, 16, v44
	s_waitcnt lgkmcnt(3)
	v_lshrrev_b32_e32 v70, 16, v42
	s_waitcnt lgkmcnt(2)
	v_lshrrev_b32_e32 v72, 16, v40
	v_mul_f16_sdwa v81, v12, v65 dst_sel:DWORD dst_unused:UNUSED_PAD src0_sel:WORD_1 src1_sel:DWORD
	v_mul_f16_sdwa v87, v14, v69 dst_sel:DWORD dst_unused:UNUSED_PAD src0_sel:WORD_1 src1_sel:DWORD
	s_waitcnt lgkmcnt(1)
	v_lshrrev_b32_e32 v74, 16, v36
	v_mul_f16_sdwa v82, v12, v33 dst_sel:DWORD dst_unused:UNUSED_PAD src0_sel:WORD_1 src1_sel:DWORD
	v_mul_f16_sdwa v83, v13, v68 dst_sel:DWORD dst_unused:UNUSED_PAD src0_sel:WORD_1 src1_sel:DWORD
	;; [unrolled: 1-line block ×3, first 2 shown]
	v_fmac_f16_e32 v81, v12, v33
	v_fmac_f16_e32 v87, v14, v39
	v_mul_f16_sdwa v33, v14, v39 dst_sel:DWORD dst_unused:UNUSED_PAD src0_sel:WORD_1 src1_sel:DWORD
	v_mul_f16_sdwa v39, v15, v70 dst_sel:DWORD dst_unused:UNUSED_PAD src0_sel:WORD_1 src1_sel:DWORD
	v_lshrrev_b32_e32 v73, 16, v45
	v_lshrrev_b32_e32 v75, 16, v43
	v_fma_f16 v12, v12, v65, -v82
	v_fmac_f16_e32 v83, v13, v44
	v_fma_f16 v13, v13, v68, -v85
	v_mul_f16_sdwa v44, v15, v42 dst_sel:DWORD dst_unused:UNUSED_PAD src0_sel:WORD_1 src1_sel:DWORD
	v_mul_f16_sdwa v65, v8, v72 dst_sel:DWORD dst_unused:UNUSED_PAD src0_sel:WORD_1 src1_sel:DWORD
	;; [unrolled: 1-line block ×3, first 2 shown]
	v_fmac_f16_e32 v39, v15, v42
	v_mul_f16_sdwa v42, v10, v74 dst_sel:DWORD dst_unused:UNUSED_PAD src0_sel:WORD_1 src1_sel:DWORD
	v_lshrrev_b32_e32 v77, 16, v41
	v_lshrrev_b32_e32 v78, 16, v38
	v_fma_f16 v14, v14, v69, -v33
	v_fma_f16 v15, v15, v70, -v44
	v_fmac_f16_e32 v65, v8, v40
	v_fma_f16 v8, v8, v72, -v68
	v_mul_f16_sdwa v33, v9, v73 dst_sel:DWORD dst_unused:UNUSED_PAD src0_sel:WORD_1 src1_sel:DWORD
	v_mul_f16_sdwa v40, v9, v45 dst_sel:DWORD dst_unused:UNUSED_PAD src0_sel:WORD_1 src1_sel:DWORD
	;; [unrolled: 1-line block ×4, first 2 shown]
	v_fmac_f16_e32 v42, v10, v36
	v_mul_f16_sdwa v36, v11, v43 dst_sel:DWORD dst_unused:UNUSED_PAD src0_sel:WORD_1 src1_sel:DWORD
	v_lshrrev_b32_e32 v79, 16, v37
	v_fmac_f16_e32 v33, v9, v45
	v_fma_f16 v9, v9, v73, -v40
	v_fma_f16 v10, v10, v74, -v44
	v_fmac_f16_e32 v68, v11, v43
	v_mul_f16_sdwa v40, v4, v77 dst_sel:DWORD dst_unused:UNUSED_PAD src0_sel:WORD_1 src1_sel:DWORD
	v_mul_f16_sdwa v44, v5, v78 dst_sel:DWORD dst_unused:UNUSED_PAD src0_sel:WORD_1 src1_sel:DWORD
	;; [unrolled: 1-line block ×3, first 2 shown]
	v_fma_f16 v11, v11, v75, -v36
	v_add_f16_e32 v36, v83, v87
	s_waitcnt lgkmcnt(0)
	v_lshrrev_b32_e32 v80, 16, v46
	v_mul_f16_sdwa v43, v4, v41 dst_sel:DWORD dst_unused:UNUSED_PAD src0_sel:WORD_1 src1_sel:DWORD
	v_fmac_f16_e32 v40, v4, v41
	v_fmac_f16_e32 v44, v5, v38
	v_fma_f16 v5, v5, v78, -v45
	v_mul_f16_sdwa v38, v6, v79 dst_sel:DWORD dst_unused:UNUSED_PAD src0_sel:WORD_1 src1_sel:DWORD
	v_mul_f16_sdwa v41, v6, v37 dst_sel:DWORD dst_unused:UNUSED_PAD src0_sel:WORD_1 src1_sel:DWORD
	v_add_f16_e32 v45, v34, v81
	v_fma_f16 v36, -0.5, v36, v34
	v_sub_f16_e32 v69, v12, v15
	v_lshrrev_b32_e32 v47, 16, v34
	v_fma_f16 v4, v4, v77, -v43
	v_mul_f16_sdwa v43, v7, v80 dst_sel:DWORD dst_unused:UNUSED_PAD src0_sel:WORD_1 src1_sel:DWORD
	v_fmac_f16_e32 v38, v6, v37
	v_fma_f16 v6, v6, v79, -v41
	v_add_f16_e32 v37, v45, v83
	v_fmamk_f16 v41, v69, 0xbb9c, v36
	v_sub_f16_e32 v45, v13, v14
	v_sub_f16_e32 v70, v81, v83
	;; [unrolled: 1-line block ×3, first 2 shown]
	v_add_f16_e32 v73, v81, v39
	v_fmac_f16_e32 v36, 0x3b9c, v69
	v_fmac_f16_e32 v43, v7, v46
	v_mul_f16_sdwa v46, v7, v46 dst_sel:DWORD dst_unused:UNUSED_PAD src0_sel:WORD_1 src1_sel:DWORD
	v_add_f16_e32 v37, v37, v87
	v_fmac_f16_e32 v41, 0xb8b4, v45
	v_add_f16_e32 v70, v70, v72
	v_fma_f16 v34, -0.5, v73, v34
	v_sub_f16_e32 v72, v83, v81
	v_sub_f16_e32 v73, v87, v39
	v_fmac_f16_e32 v36, 0x38b4, v45
	v_add_f16_e32 v74, v47, v12
	v_add_f16_e32 v75, v13, v14
	v_fma_f16 v7, v7, v80, -v46
	v_add_f16_e32 v37, v37, v39
	v_fmac_f16_e32 v41, 0x34f2, v70
	v_fmamk_f16 v46, v45, 0x3b9c, v34
	v_add_f16_e32 v72, v72, v73
	v_fmac_f16_e32 v34, 0xbb9c, v45
	v_add_f16_e32 v45, v74, v13
	v_fma_f16 v73, -0.5, v75, v47
	v_sub_f16_e32 v39, v81, v39
	v_fmac_f16_e32 v36, 0x34f2, v70
	v_add_f16_e32 v70, v12, v15
	v_sub_f16_e32 v75, v12, v13
	v_sub_f16_e32 v12, v13, v12
	;; [unrolled: 1-line block ×3, first 2 shown]
	v_fmac_f16_e32 v46, 0xb8b4, v69
	v_fmac_f16_e32 v34, 0x38b4, v69
	v_add_f16_e32 v45, v45, v14
	v_fmamk_f16 v69, v39, 0x3b9c, v73
	v_sub_f16_e32 v74, v83, v87
	v_sub_f16_e32 v77, v15, v14
	v_fmac_f16_e32 v47, -0.5, v70
	v_fmac_f16_e32 v73, 0xbb9c, v39
	v_add_f16_e32 v14, v33, v42
	v_add_f16_e32 v12, v12, v13
	;; [unrolled: 1-line block ×3, first 2 shown]
	v_lshrrev_b32_e32 v71, 16, v35
	v_fmac_f16_e32 v46, 0x34f2, v72
	v_fmac_f16_e32 v34, 0x34f2, v72
	v_add_f16_e32 v45, v45, v15
	v_fmac_f16_e32 v69, 0x38b4, v74
	v_add_f16_e32 v70, v75, v77
	v_fmamk_f16 v72, v74, 0xbb9c, v47
	v_fmac_f16_e32 v73, 0xb8b4, v74
	v_fma_f16 v14, -0.5, v14, v35
	v_sub_f16_e32 v15, v8, v11
	v_fmac_f16_e32 v47, 0x3b9c, v74
	v_add_f16_e32 v13, v13, v33
	v_sub_f16_e32 v75, v65, v33
	v_sub_f16_e32 v77, v68, v42
	v_add_f16_e32 v78, v65, v68
	v_fmac_f16_e32 v69, 0x34f2, v70
	v_fmac_f16_e32 v72, 0x38b4, v39
	;; [unrolled: 1-line block ×3, first 2 shown]
	v_fmamk_f16 v70, v15, 0xbb9c, v14
	v_sub_f16_e32 v74, v9, v10
	v_fmac_f16_e32 v47, 0xb8b4, v39
	v_add_f16_e32 v13, v13, v42
	v_add_f16_e32 v39, v75, v77
	v_fmac_f16_e32 v35, -0.5, v78
	v_fmac_f16_e32 v14, 0x3b9c, v15
	v_sub_f16_e32 v75, v33, v65
	v_sub_f16_e32 v77, v42, v68
	v_add_f16_e32 v78, v71, v8
	v_add_f16_e32 v79, v9, v10
	v_fmac_f16_e32 v72, 0x34f2, v12
	v_fmac_f16_e32 v70, 0xb8b4, v74
	;; [unrolled: 1-line block ×3, first 2 shown]
	v_add_f16_e32 v12, v13, v68
	v_fmamk_f16 v13, v74, 0x3b9c, v35
	v_fmac_f16_e32 v14, 0x38b4, v74
	v_add_f16_e32 v75, v75, v77
	v_fmac_f16_e32 v35, 0xbb9c, v74
	v_add_f16_e32 v74, v78, v9
	v_fma_f16 v77, -0.5, v79, v71
	v_sub_f16_e32 v65, v65, v68
	v_add_f16_e32 v68, v8, v11
	v_fmac_f16_e32 v70, 0x34f2, v39
	v_fmac_f16_e32 v13, 0xb8b4, v15
	;; [unrolled: 1-line block ×4, first 2 shown]
	v_add_f16_e32 v15, v74, v10
	v_fmamk_f16 v39, v65, 0x3b9c, v77
	v_sub_f16_e32 v33, v33, v42
	v_sub_f16_e32 v42, v8, v9
	;; [unrolled: 1-line block ×3, first 2 shown]
	v_fmac_f16_e32 v71, -0.5, v68
	v_fmac_f16_e32 v77, 0xbb9c, v65
	v_sub_f16_e32 v8, v9, v8
	v_sub_f16_e32 v9, v10, v11
	v_add_f16_e32 v10, v44, v38
	v_add_f16_e32 v15, v15, v11
	v_fmac_f16_e32 v39, 0x38b4, v33
	v_add_f16_e32 v42, v42, v74
	v_fmamk_f16 v68, v33, 0xbb9c, v71
	v_fmac_f16_e32 v77, 0xb8b4, v33
	v_add_f16_e32 v8, v8, v9
	v_fmac_f16_e32 v71, 0x3b9c, v33
	v_add_f16_e32 v9, v32, v40
	v_fma_f16 v10, -0.5, v10, v32
	v_sub_f16_e32 v11, v4, v7
	v_fmac_f16_e32 v13, 0x34f2, v75
	v_fmac_f16_e32 v35, 0x34f2, v75
	;; [unrolled: 1-line block ×6, first 2 shown]
	v_add_f16_e32 v9, v9, v44
	v_fmamk_f16 v33, v11, 0xbb9c, v10
	v_sub_f16_e32 v42, v5, v6
	v_sub_f16_e32 v65, v40, v44
	;; [unrolled: 1-line block ×3, first 2 shown]
	v_fmac_f16_e32 v10, 0x3b9c, v11
	v_add_f16_e32 v75, v40, v43
	v_lshrrev_b32_e32 v76, 16, v32
	v_add_f16_e32 v9, v9, v38
	v_fmac_f16_e32 v33, 0xb8b4, v42
	v_add_f16_e32 v65, v65, v74
	v_fmac_f16_e32 v10, 0x38b4, v42
	v_fmac_f16_e32 v32, -0.5, v75
	v_sub_f16_e32 v74, v44, v40
	v_sub_f16_e32 v75, v38, v43
	v_fmac_f16_e32 v68, 0x34f2, v8
	v_fmac_f16_e32 v71, 0x34f2, v8
	v_add_f16_e32 v8, v9, v43
	v_fmac_f16_e32 v33, 0x34f2, v65
	v_fmac_f16_e32 v10, 0x34f2, v65
	v_fmamk_f16 v9, v42, 0x3b9c, v32
	v_add_f16_e32 v65, v5, v6
	v_fmac_f16_e32 v32, 0xbb9c, v42
	v_sub_f16_e32 v40, v40, v43
	v_add_f16_e32 v43, v74, v75
	v_add_f16_e32 v74, v4, v7
	;; [unrolled: 1-line block ×3, first 2 shown]
	v_fma_f16 v65, -0.5, v65, v76
	v_fmac_f16_e32 v9, 0xb8b4, v11
	v_fmac_f16_e32 v32, 0x38b4, v11
	v_sub_f16_e32 v38, v44, v38
	v_fmac_f16_e32 v76, -0.5, v74
	v_add_f16_e32 v11, v42, v5
	v_fmamk_f16 v42, v40, 0x3b9c, v65
	v_fmac_f16_e32 v9, 0x34f2, v43
	v_fmac_f16_e32 v32, 0x34f2, v43
	v_sub_f16_e32 v43, v4, v5
	v_sub_f16_e32 v44, v7, v6
	v_fmac_f16_e32 v65, 0xbb9c, v40
	v_fmamk_f16 v74, v38, 0xbb9c, v76
	v_sub_f16_e32 v4, v5, v4
	v_sub_f16_e32 v5, v6, v7
	v_fmac_f16_e32 v76, 0x3b9c, v38
	v_add_f16_e32 v11, v11, v6
	v_fmac_f16_e32 v42, 0x38b4, v38
	v_add_f16_e32 v6, v43, v44
	v_fmac_f16_e32 v65, 0xb8b4, v38
	v_fmac_f16_e32 v74, 0x38b4, v40
	v_add_f16_e32 v4, v4, v5
	v_fmac_f16_e32 v76, 0xb8b4, v40
	v_fmac_f16_e32 v42, 0x34f2, v6
	;; [unrolled: 1-line block ×3, first 2 shown]
	v_pack_b32_f16 v6, v41, v69
	v_fmac_f16_e32 v74, 0x34f2, v4
	v_fmac_f16_e32 v76, 0x34f2, v4
	v_pack_b32_f16 v4, v37, v45
	v_add_f16_e32 v5, v11, v7
	v_pack_b32_f16 v7, v46, v72
	v_pack_b32_f16 v11, v34, v47
	;; [unrolled: 1-line block ×5, first 2 shown]
	s_barrier
	buffer_gl0_inv
	ds_write2_b32 v58, v4, v6 offset1:17
	ds_write2_b32 v58, v7, v11 offset0:34 offset1:51
	ds_write_b32 v58, v34 offset:272
	ds_write2_b32 v57, v12, v15 offset1:17
	v_pack_b32_f16 v4, v13, v68
	v_pack_b32_f16 v6, v35, v71
	;; [unrolled: 1-line block ×8, first 2 shown]
	ds_write2_b32 v57, v4, v6 offset0:34 offset1:51
	ds_write_b32 v57, v7 offset:272
	ds_write2_b32 v56, v5, v8 offset1:17
	ds_write2_b32 v56, v9, v11 offset0:34 offset1:51
	ds_write_b32 v56, v10 offset:272
	s_and_saveexec_b32 s1, s0
	s_cbranch_execz .LBB0_21
; %bb.20:
	v_mul_f16_sdwa v4, v0, v84 dst_sel:DWORD dst_unused:UNUSED_PAD src0_sel:WORD_1 src1_sel:DWORD
	v_mul_f16_sdwa v6, v0, v86 dst_sel:DWORD dst_unused:UNUSED_PAD src0_sel:WORD_1 src1_sel:DWORD
	;; [unrolled: 1-line block ×5, first 2 shown]
	v_fma_f16 v4, v0, v86, -v4
	v_fmac_f16_e32 v6, v0, v84
	v_mul_f16_sdwa v0, v2, v62 dst_sel:DWORD dst_unused:UNUSED_PAD src0_sel:WORD_1 src1_sel:DWORD
	v_mul_f16_sdwa v9, v1, v64 dst_sel:DWORD dst_unused:UNUSED_PAD src0_sel:WORD_1 src1_sel:DWORD
	v_fma_f16 v8, v1, v64, -v8
	v_add_f16_e32 v10, v4, v67
	v_mul_f16_sdwa v11, v3, v61 dst_sel:DWORD dst_unused:UNUSED_PAD src0_sel:WORD_1 src1_sel:DWORD
	v_fma_f16 v7, v2, v62, -v7
	v_fmac_f16_e32 v0, v2, v60
	v_fma_f16 v2, v3, v61, -v5
	v_fmac_f16_e32 v9, v1, v63
	v_add_f16_e32 v10, v8, v10
	v_fmac_f16_e32 v11, v3, v59
	v_add_f16_e32 v12, v8, v7
	v_add_f16_e32 v5, v4, v2
	v_sub_f16_e32 v13, v8, v4
	v_add_f16_e32 v3, v7, v10
	v_sub_f16_e32 v10, v9, v0
	v_sub_f16_e32 v15, v6, v11
	v_fma_f16 v5, -0.5, v5, v67
	v_fmac_f16_e32 v67, -0.5, v12
	v_sub_f16_e32 v14, v7, v2
	v_add_f16_e32 v1, v6, v66
	v_add_f16_e32 v3, v2, v3
	v_fmamk_f16 v12, v10, 0x3b9c, v5
	v_fmac_f16_e32 v5, 0xbb9c, v10
	v_fmamk_f16 v34, v15, 0xbb9c, v67
	v_fmac_f16_e32 v67, 0x3b9c, v15
	v_add_f16_e32 v13, v13, v14
	v_fmac_f16_e32 v12, 0xb8b4, v15
	v_fmac_f16_e32 v5, 0x38b4, v15
	;; [unrolled: 1-line block ×3, first 2 shown]
	v_add_f16_e32 v15, v6, v11
	v_fmac_f16_e32 v67, 0x38b4, v10
	v_add_f16_e32 v10, v9, v0
	v_add_f16_e32 v1, v9, v1
	v_sub_f16_e32 v33, v2, v7
	v_fmac_f16_e32 v12, 0x34f2, v13
	v_fmac_f16_e32 v5, 0x34f2, v13
	v_fma_f16 v13, -0.5, v15, v66
	v_sub_f16_e32 v2, v4, v2
	v_fmac_f16_e32 v66, -0.5, v10
	v_sub_f16_e32 v7, v8, v7
	v_add_f16_e32 v1, v0, v1
	v_sub_f16_e32 v32, v4, v8
	v_sub_f16_e32 v8, v9, v6
	;; [unrolled: 1-line block ×5, first 2 shown]
	v_fmamk_f16 v9, v2, 0x3b9c, v66
	v_fmac_f16_e32 v66, 0xbb9c, v2
	v_fmamk_f16 v10, v7, 0xbb9c, v13
	v_fmac_f16_e32 v13, 0x3b9c, v7
	v_add_f16_e32 v14, v32, v33
	v_add_f16_e32 v0, v6, v0
	v_fmac_f16_e32 v66, 0xb8b4, v7
	v_add_f16_e32 v4, v8, v4
	v_fmac_f16_e32 v10, 0x38b4, v2
	v_fmac_f16_e32 v13, 0xb8b4, v2
	;; [unrolled: 1-line block ×3, first 2 shown]
	v_add_f16_e32 v1, v11, v1
	v_fmac_f16_e32 v67, 0x34f2, v14
	v_fmac_f16_e32 v66, 0x34f2, v0
	v_lshl_add_u32 v2, v55, 2, v52
	v_fmac_f16_e32 v10, 0x34f2, v4
	v_fmac_f16_e32 v13, 0x34f2, v4
	;; [unrolled: 1-line block ×4, first 2 shown]
	v_pack_b32_f16 v0, v1, v3
	v_pack_b32_f16 v1, v66, v67
	v_add_nc_u32_e32 v3, 0x1200, v2
	v_pack_b32_f16 v4, v13, v5
	v_pack_b32_f16 v5, v10, v12
	v_add_nc_u32_e32 v6, 0x1400, v2
	v_pack_b32_f16 v7, v9, v34
	ds_write2_b32 v3, v0, v1 offset0:123 offset1:140
	ds_write2_b32 v6, v4, v5 offset0:29 offset1:46
	ds_write_b32 v2, v7 offset:5372
.LBB0_21:
	s_or_b32 exec_lo, exec_lo, s1
	s_waitcnt lgkmcnt(0)
	s_barrier
	buffer_gl0_inv
	ds_read2_b32 v[0:1], v54 offset1:85
	v_add_nc_u32_e32 v2, 0x200, v54
	ds_read_b32 v14, v54 offset:680
	ds_read2_b32 v[2:3], v2 offset0:127 offset1:212
	v_add_nc_u32_e32 v4, 0x400, v54
	v_add_nc_u32_e32 v6, 0x800, v54
	;; [unrolled: 1-line block ×5, first 2 shown]
	ds_read2_b32 v[4:5], v4 offset0:169 offset1:254
	ds_read2_b32 v[6:7], v6 offset0:83 offset1:168
	;; [unrolled: 1-line block ×5, first 2 shown]
	ds_read_b32 v15, v54 offset:5100
	s_waitcnt lgkmcnt(8)
	v_lshrrev_b32_e32 v33, 16, v1
	v_mul_f16_sdwa v54, v24, v1 dst_sel:DWORD dst_unused:UNUSED_PAD src0_sel:WORD_1 src1_sel:DWORD
	v_lshrrev_b32_e32 v32, 16, v0
	s_waitcnt lgkmcnt(7)
	v_lshrrev_b32_e32 v34, 16, v14
	s_waitcnt lgkmcnt(6)
	v_lshrrev_b32_e32 v35, 16, v2
	v_mul_f16_sdwa v46, v24, v33 dst_sel:DWORD dst_unused:UNUSED_PAD src0_sel:WORD_1 src1_sel:DWORD
	v_lshrrev_b32_e32 v36, 16, v3
	v_mul_f16_sdwa v55, v25, v34 dst_sel:DWORD dst_unused:UNUSED_PAD src0_sel:WORD_1 src1_sel:DWORD
	v_mul_f16_sdwa v56, v26, v35 dst_sel:DWORD dst_unused:UNUSED_PAD src0_sel:WORD_1 src1_sel:DWORD
	v_fmac_f16_e32 v46, v24, v1
	v_mul_f16_sdwa v1, v25, v14 dst_sel:DWORD dst_unused:UNUSED_PAD src0_sel:WORD_1 src1_sel:DWORD
	s_waitcnt lgkmcnt(5)
	v_lshrrev_b32_e32 v37, 16, v4
	v_lshrrev_b32_e32 v38, 16, v5
	s_waitcnt lgkmcnt(4)
	v_lshrrev_b32_e32 v39, 16, v6
	v_fmac_f16_e32 v55, v25, v14
	v_mul_f16_sdwa v14, v26, v2 dst_sel:DWORD dst_unused:UNUSED_PAD src0_sel:WORD_1 src1_sel:DWORD
	v_fma_f16 v1, v25, v34, -v1
	v_fmac_f16_e32 v56, v26, v2
	v_mul_f16_sdwa v2, v27, v36 dst_sel:DWORD dst_unused:UNUSED_PAD src0_sel:WORD_1 src1_sel:DWORD
	v_mul_f16_sdwa v25, v27, v3 dst_sel:DWORD dst_unused:UNUSED_PAD src0_sel:WORD_1 src1_sel:DWORD
	v_lshrrev_b32_e32 v40, 16, v7
	v_fma_f16 v24, v24, v33, -v54
	v_fma_f16 v14, v26, v35, -v14
	v_mul_f16_sdwa v26, v20, v37 dst_sel:DWORD dst_unused:UNUSED_PAD src0_sel:WORD_1 src1_sel:DWORD
	v_mul_f16_sdwa v33, v20, v4 dst_sel:DWORD dst_unused:UNUSED_PAD src0_sel:WORD_1 src1_sel:DWORD
	v_fmac_f16_e32 v2, v27, v3
	v_fma_f16 v3, v27, v36, -v25
	v_mul_f16_sdwa v25, v21, v38 dst_sel:DWORD dst_unused:UNUSED_PAD src0_sel:WORD_1 src1_sel:DWORD
	v_mul_f16_sdwa v27, v22, v39 dst_sel:DWORD dst_unused:UNUSED_PAD src0_sel:WORD_1 src1_sel:DWORD
	s_waitcnt lgkmcnt(3)
	v_lshrrev_b32_e32 v41, 16, v8
	v_lshrrev_b32_e32 v42, 16, v9
	v_fmac_f16_e32 v26, v20, v4
	v_fma_f16 v4, v20, v37, -v33
	v_mul_f16_sdwa v20, v21, v5 dst_sel:DWORD dst_unused:UNUSED_PAD src0_sel:WORD_1 src1_sel:DWORD
	v_fmac_f16_e32 v25, v21, v5
	v_mul_f16_sdwa v5, v22, v6 dst_sel:DWORD dst_unused:UNUSED_PAD src0_sel:WORD_1 src1_sel:DWORD
	v_mul_f16_sdwa v33, v23, v40 dst_sel:DWORD dst_unused:UNUSED_PAD src0_sel:WORD_1 src1_sel:DWORD
	v_fmac_f16_e32 v27, v22, v6
	v_mul_f16_sdwa v6, v23, v7 dst_sel:DWORD dst_unused:UNUSED_PAD src0_sel:WORD_1 src1_sel:DWORD
	s_waitcnt lgkmcnt(2)
	v_lshrrev_b32_e32 v43, 16, v10
	v_lshrrev_b32_e32 v44, 16, v11
	s_waitcnt lgkmcnt(1)
	v_lshrrev_b32_e32 v45, 16, v12
	v_fma_f16 v20, v21, v38, -v20
	v_fma_f16 v5, v22, v39, -v5
	v_fmac_f16_e32 v33, v23, v7
	v_mul_f16_sdwa v7, v16, v41 dst_sel:DWORD dst_unused:UNUSED_PAD src0_sel:WORD_1 src1_sel:DWORD
	v_mul_f16_sdwa v21, v16, v8 dst_sel:DWORD dst_unused:UNUSED_PAD src0_sel:WORD_1 src1_sel:DWORD
	v_fma_f16 v6, v23, v40, -v6
	v_mul_f16_sdwa v22, v17, v42 dst_sel:DWORD dst_unused:UNUSED_PAD src0_sel:WORD_1 src1_sel:DWORD
	v_mul_f16_sdwa v23, v17, v9 dst_sel:DWORD dst_unused:UNUSED_PAD src0_sel:WORD_1 src1_sel:DWORD
	v_lshrrev_b32_e32 v47, 16, v13
	v_fmac_f16_e32 v7, v16, v8
	v_fma_f16 v8, v16, v41, -v21
	v_mul_f16_sdwa v16, v18, v43 dst_sel:DWORD dst_unused:UNUSED_PAD src0_sel:WORD_1 src1_sel:DWORD
	v_fmac_f16_e32 v22, v17, v9
	v_fma_f16 v9, v17, v42, -v23
	v_mul_f16_sdwa v17, v18, v10 dst_sel:DWORD dst_unused:UNUSED_PAD src0_sel:WORD_1 src1_sel:DWORD
	v_mul_f16_sdwa v21, v19, v44 dst_sel:DWORD dst_unused:UNUSED_PAD src0_sel:WORD_1 src1_sel:DWORD
	;; [unrolled: 1-line block ×3, first 2 shown]
	v_fmac_f16_e32 v16, v18, v10
	v_mul_f16_sdwa v10, v19, v11 dst_sel:DWORD dst_unused:UNUSED_PAD src0_sel:WORD_1 src1_sel:DWORD
	v_fma_f16 v17, v18, v43, -v17
	v_fmac_f16_e32 v21, v19, v11
	v_mul_f16_sdwa v11, v28, v12 dst_sel:DWORD dst_unused:UNUSED_PAD src0_sel:WORD_1 src1_sel:DWORD
	v_fmac_f16_e32 v23, v28, v12
	v_mul_f16_sdwa v12, v29, v47 dst_sel:DWORD dst_unused:UNUSED_PAD src0_sel:WORD_1 src1_sel:DWORD
	v_mul_f16_sdwa v18, v29, v13 dst_sel:DWORD dst_unused:UNUSED_PAD src0_sel:WORD_1 src1_sel:DWORD
	s_waitcnt lgkmcnt(0)
	v_lshrrev_b32_e32 v52, 16, v15
	v_fma_f16 v10, v19, v44, -v10
	v_fma_f16 v11, v28, v45, -v11
	v_fmac_f16_e32 v12, v29, v13
	v_fma_f16 v13, v29, v47, -v18
	v_mul_f16_sdwa v19, v30, v52 dst_sel:DWORD dst_unused:UNUSED_PAD src0_sel:WORD_1 src1_sel:DWORD
	v_mul_f16_sdwa v28, v30, v15 dst_sel:DWORD dst_unused:UNUSED_PAD src0_sel:WORD_1 src1_sel:DWORD
	v_sub_f16_e32 v6, v32, v6
	v_sub_f16_e32 v21, v2, v21
	;; [unrolled: 1-line block ×7, first 2 shown]
	v_fmac_f16_e32 v19, v30, v15
	v_fma_f16 v15, v30, v52, -v28
	v_sub_f16_e32 v22, v55, v22
	v_fma_f16 v28, v32, 2.0, -v6
	v_fma_f16 v2, v2, 2.0, -v21
	;; [unrolled: 1-line block ×6, first 2 shown]
	v_sub_f16_e32 v21, v6, v21
	v_sub_f16_e32 v12, v9, v12
	;; [unrolled: 1-line block ×11, first 2 shown]
	v_add_f16_e32 v10, v18, v10
	v_fma_f16 v6, v6, 2.0, -v21
	v_sub_f16_e32 v20, v1, v20
	v_add_f16_e32 v13, v22, v13
	v_fma_f16 v9, v9, 2.0, -v12
	v_fma_f16 v0, v0, 2.0, -v18
	;; [unrolled: 1-line block ×15, first 2 shown]
	v_add_f16_e32 v11, v7, v11
	v_add_f16_e32 v15, v16, v15
	v_fmamk_f16 v34, v9, 0xb9a8, v6
	v_sub_f16_e32 v2, v0, v2
	v_sub_f16_e32 v25, v29, v25
	;; [unrolled: 1-line block ×7, first 2 shown]
	v_fma_f16 v7, v7, 2.0, -v11
	v_sub_f16_e32 v19, v17, v19
	v_fmamk_f16 v33, v22, 0xb9a8, v18
	v_fma_f16 v16, v16, 2.0, -v15
	v_sub_f16_e32 v1, v28, v1
	v_fmac_f16_e32 v34, 0xb9a8, v22
	v_fmamk_f16 v22, v13, 0x39a8, v10
	v_fma_f16 v0, v0, 2.0, -v2
	v_fma_f16 v29, v29, 2.0, -v25
	v_fma_f16 v30, v30, 2.0, -v26
	v_fma_f16 v24, v24, 2.0, -v4
	v_fma_f16 v8, v8, 2.0, -v23
	v_fma_f16 v32, v32, 2.0, -v27
	v_fma_f16 v14, v14, 2.0, -v5
	v_fmac_f16_e32 v33, 0x39a8, v9
	v_fma_f16 v9, v17, 2.0, -v19
	v_fma_f16 v17, v28, 2.0, -v1
	v_fmamk_f16 v28, v12, 0x39a8, v21
	v_fmac_f16_e32 v22, 0x39a8, v12
	v_fmamk_f16 v12, v16, 0xb9a8, v7
	v_sub_f16_e32 v29, v0, v29
	v_sub_f16_e32 v14, v24, v14
	v_fmac_f16_e32 v28, 0xb9a8, v13
	v_sub_f16_e32 v13, v30, v32
	v_fmamk_f16 v32, v9, 0xb9a8, v8
	v_fmac_f16_e32 v12, 0x39a8, v9
	v_fma_f16 v0, v0, 2.0, -v29
	v_fma_f16 v18, v18, 2.0, -v33
	v_add_f16_e32 v20, v2, v20
	v_fma_f16 v9, v21, 2.0, -v28
	v_fma_f16 v21, v30, 2.0, -v13
	;; [unrolled: 1-line block ×3, first 2 shown]
	v_fmac_f16_e32 v32, 0xb9a8, v16
	v_fma_f16 v7, v7, 2.0, -v12
	v_fmamk_f16 v16, v15, 0x39a8, v11
	v_add_f16_e32 v5, v26, v5
	v_fmamk_f16 v30, v19, 0x39a8, v23
	v_sub_f16_e32 v25, v3, v25
	v_fma_f16 v6, v6, 2.0, -v34
	v_fma_f16 v2, v2, 2.0, -v20
	v_sub_f16_e32 v27, v4, v27
	v_fma_f16 v8, v8, 2.0, -v32
	v_fmac_f16_e32 v16, 0x39a8, v19
	v_fma_f16 v19, v26, 2.0, -v5
	v_fmac_f16_e32 v30, 0xb9a8, v15
	v_sub_f16_e32 v15, v0, v21
	v_fmamk_f16 v21, v7, 0xbb64, v18
	v_sub_f16_e32 v24, v17, v24
	v_fma_f16 v3, v3, 2.0, -v25
	v_fma_f16 v4, v4, 2.0, -v27
	;; [unrolled: 1-line block ×3, first 2 shown]
	v_fmamk_f16 v26, v8, 0xbb64, v6
	v_fmac_f16_e32 v21, 0x361f, v8
	v_fma_f16 v8, v17, 2.0, -v24
	v_fmamk_f16 v17, v19, 0xb9a8, v2
	v_fma_f16 v10, v10, 2.0, -v22
	v_fma_f16 v11, v11, 2.0, -v16
	v_fmamk_f16 v35, v4, 0xb9a8, v3
	v_fmac_f16_e32 v26, 0xb61f, v7
	v_fmac_f16_e32 v17, 0x39a8, v4
	v_fmamk_f16 v4, v23, 0xb61f, v9
	v_fma_f16 v7, v18, 2.0, -v21
	v_fmamk_f16 v18, v11, 0xb61f, v10
	v_fmac_f16_e32 v35, 0xb9a8, v19
	v_sub_f16_e32 v13, v1, v13
	v_fmac_f16_e32 v4, 0xbb64, v11
	v_add_f16_e32 v11, v29, v14
	v_fmamk_f16 v14, v12, 0x361f, v33
	v_fmac_f16_e32 v18, 0x3b64, v23
	v_fmamk_f16 v23, v32, 0x361f, v34
	v_fma_f16 v0, v0, 2.0, -v15
	v_fma_f16 v19, v29, 2.0, -v11
	v_fmamk_f16 v29, v5, 0x39a8, v20
	v_fmac_f16_e32 v14, 0x3b64, v32
	v_fmamk_f16 v32, v27, 0x39a8, v25
	v_fmac_f16_e32 v23, 0xbb64, v12
	;; [unrolled: 2-line block ×4, first 2 shown]
	v_fma_f16 v2, v2, 2.0, -v17
	v_fma_f16 v3, v3, 2.0, -v35
	v_fma_f16 v10, v10, 2.0, -v18
	v_fma_f16 v9, v9, 2.0, -v4
	v_fmac_f16_e32 v12, 0x361f, v30
	v_fmac_f16_e32 v27, 0xb61f, v16
	v_fma_f16 v6, v6, 2.0, -v26
	v_fma_f16 v1, v1, 2.0, -v13
	;; [unrolled: 1-line block ×7, first 2 shown]
	v_pack_b32_f16 v8, v0, v8
	v_pack_b32_f16 v2, v2, v3
	;; [unrolled: 1-line block ×3, first 2 shown]
	v_fma_f16 v10, v28, 2.0, -v27
	v_pack_b32_f16 v6, v7, v6
	v_pack_b32_f16 v7, v19, v1
	v_add_nc_u32_e32 v1, 0x200, v53
	v_pack_b32_f16 v5, v33, v5
	v_pack_b32_f16 v9, v20, v25
	v_add_nc_u32_e32 v0, 0x400, v53
	ds_write_b32 v53, v8
	ds_write2_b32 v53, v6, v2 offset0:85 offset1:170
	ds_write2_b32 v1, v3, v7 offset0:127 offset1:212
	;; [unrolled: 1-line block ×3, first 2 shown]
	v_pack_b32_f16 v2, v16, v10
	v_pack_b32_f16 v3, v15, v24
	v_add_nc_u32_e32 v7, 0x800, v53
	v_add_nc_u32_e32 v6, 0xa00, v53
	v_pack_b32_f16 v10, v18, v4
	v_add_nc_u32_e32 v5, 0xc00, v53
	v_add_nc_u32_e32 v4, 0x1000, v53
	v_pack_b32_f16 v8, v21, v26
	v_pack_b32_f16 v9, v17, v35
	;; [unrolled: 1-line block ×6, first 2 shown]
	ds_write2_b32 v7, v2, v3 offset0:83 offset1:168
	ds_write2_b32 v6, v8, v9 offset0:125 offset1:210
	;; [unrolled: 1-line block ×4, first 2 shown]
	ds_write_b32 v53, v12 offset:5100
	s_waitcnt lgkmcnt(0)
	s_barrier
	buffer_gl0_inv
	s_and_b32 exec_lo, exec_lo, vcc_lo
	s_cbranch_execz .LBB0_23
; %bb.22:
	global_load_dword v2, v50, s[12:13]
	ds_read_b32 v3, v53
	s_mov_b32 s8, 0x18181818
	s_mov_b32 s9, 0x3f481818
	v_mad_u64_u32 v[12:13], null, s4, v51, 0
	s_mul_hi_u32 s3, s4, 0x140
	s_waitcnt lgkmcnt(0)
	v_lshrrev_b32_e32 v8, 16, v3
	s_waitcnt vmcnt(0)
	v_mul_f16_sdwa v9, v8, v2 dst_sel:DWORD dst_unused:UNUSED_PAD src0_sel:DWORD src1_sel:WORD_1
	v_mul_f16_sdwa v10, v3, v2 dst_sel:DWORD dst_unused:UNUSED_PAD src0_sel:DWORD src1_sel:WORD_1
	v_fmac_f16_e32 v9, v3, v2
	v_fma_f16 v2, v2, v8, -v10
	v_mad_u64_u32 v[10:11], null, s6, v31, 0
	s_mul_i32 s6, s4, 0x140
	v_cvt_f32_f16_e32 v3, v9
	v_cvt_f32_f16_e32 v8, v2
	v_cvt_f64_f32_e32 v[2:3], v3
	v_cvt_f64_f32_e32 v[8:9], v8
	v_mul_f64 v[2:3], v[2:3], s[8:9]
	v_mul_f64 v[8:9], v[8:9], s[8:9]
	v_and_or_b32 v2, 0x1ff, v3, v2
	v_and_or_b32 v8, 0x1ff, v9, v8
	v_lshrrev_b32_e32 v14, 8, v3
	v_bfe_u32 v16, v3, 20, 11
	v_lshrrev_b32_e32 v15, 8, v9
	v_cmp_ne_u32_e32 vcc_lo, 0, v2
	v_bfe_u32 v17, v9, 20, 11
	v_mov_b32_e32 v2, v13
	v_sub_nc_u32_e32 v19, 0x3f1, v16
	v_add_nc_u32_e32 v16, 0xfffffc10, v16
	v_cndmask_b32_e64 v18, 0, 1, vcc_lo
	v_cmp_ne_u32_e32 vcc_lo, 0, v8
	v_sub_nc_u32_e32 v20, 0x3f1, v17
	v_med3_i32 v19, v19, 0, 13
	v_add_nc_u32_e32 v17, 0xfffffc10, v17
	v_and_or_b32 v18, 0xffe, v14, v18
	v_cndmask_b32_e64 v8, 0, 1, vcc_lo
	v_mad_u64_u32 v[13:14], null, s7, v31, v[11:12]
	v_med3_i32 v20, v20, 0, 13
	v_or_b32_e32 v21, 0x1000, v18
	v_and_or_b32 v8, 0xffe, v15, v8
	v_mad_u64_u32 v[14:15], null, s5, v51, v[2:3]
	v_lshrrev_b32_e32 v3, 16, v3
	v_lshrrev_b32_e32 v2, v19, v21
	v_or_b32_e32 v22, 0x1000, v8
	v_mov_b32_e32 v11, v13
	v_lshrrev_b32_e32 v9, 16, v9
	v_mov_b32_e32 v13, v14
	v_lshrrev_b32_e32 v15, v20, v22
	v_lshlrev_b32_e32 v19, v19, v2
	v_lshlrev_b64 v[10:11], 2, v[10:11]
	v_lshlrev_b64 v[12:13], 2, v[12:13]
	v_lshlrev_b32_e32 v14, v20, v15
	v_cmp_ne_u32_e32 vcc_lo, v19, v21
	v_lshl_or_b32 v20, v16, 12, v18
	v_cndmask_b32_e64 v19, 0, 1, vcc_lo
	v_cmp_ne_u32_e32 vcc_lo, v14, v22
	v_or_b32_e32 v2, v2, v19
	v_cndmask_b32_e64 v14, 0, 1, vcc_lo
	v_cmp_gt_i32_e32 vcc_lo, 1, v16
	v_lshl_or_b32 v19, v17, 12, v8
	v_or_b32_e32 v14, v15, v14
	v_cndmask_b32_e32 v2, v20, v2, vcc_lo
	v_cmp_gt_i32_e32 vcc_lo, 1, v17
	v_cndmask_b32_e32 v14, v19, v14, vcc_lo
	v_cmp_ne_u32_e32 vcc_lo, 0, v18
	v_and_b32_e32 v18, 7, v2
	v_lshrrev_b32_e32 v2, 2, v2
	v_and_b32_e32 v19, 7, v14
	v_cndmask_b32_e64 v15, 0, 1, vcc_lo
	v_cmp_ne_u32_e32 vcc_lo, 0, v8
	v_cmp_eq_u32_e64 s0, 3, v18
	v_lshrrev_b32_e32 v14, 2, v14
	v_cmp_lt_i32_e64 s1, 5, v19
	v_cmp_eq_u32_e64 s2, 3, v19
	v_cndmask_b32_e64 v8, 0, 1, vcc_lo
	v_cmp_lt_i32_e32 vcc_lo, 5, v18
	v_lshl_or_b32 v15, v15, 9, 0x7c00
	v_lshl_or_b32 v8, v8, 9, 0x7c00
	s_or_b32 vcc_lo, s0, vcc_lo
	v_add_co_ci_u32_e32 v2, vcc_lo, 0, v2, vcc_lo
	s_or_b32 vcc_lo, s2, s1
	v_add_co_ci_u32_e32 v14, vcc_lo, 0, v14, vcc_lo
	v_cmp_gt_i32_e32 vcc_lo, 31, v16
	v_cndmask_b32_e32 v2, 0x7c00, v2, vcc_lo
	v_cmp_gt_i32_e32 vcc_lo, 31, v17
	v_cndmask_b32_e32 v14, 0x7c00, v14, vcc_lo
	v_cmp_eq_u32_e32 vcc_lo, 0x40f, v16
	v_cndmask_b32_e32 v2, v2, v15, vcc_lo
	v_cmp_eq_u32_e32 vcc_lo, 0x40f, v17
	v_cndmask_b32_e32 v8, v14, v8, vcc_lo
	v_and_or_b32 v14, 0x8000, v3, v2
	v_add_co_u32 v2, vcc_lo, s14, v10
	v_add_co_ci_u32_e32 v3, vcc_lo, s15, v11, vcc_lo
	v_and_or_b32 v10, 0x8000, v9, v8
	v_and_b32_e32 v11, 0xffff, v14
	v_add_co_u32 v8, vcc_lo, v2, v12
	v_add_co_ci_u32_e32 v9, vcc_lo, v3, v13, vcc_lo
	v_lshl_or_b32 v10, v10, 16, v11
	global_store_dword v[8:9], v10, off
	global_load_dword v12, v50, s[12:13] offset:320
	ds_read2_b32 v[10:11], v53 offset0:80 offset1:160
	s_waitcnt lgkmcnt(0)
	v_lshrrev_b32_e32 v13, 16, v10
	s_waitcnt vmcnt(0)
	v_mul_f16_sdwa v14, v13, v12 dst_sel:DWORD dst_unused:UNUSED_PAD src0_sel:DWORD src1_sel:WORD_1
	v_mul_f16_sdwa v15, v10, v12 dst_sel:DWORD dst_unused:UNUSED_PAD src0_sel:DWORD src1_sel:WORD_1
	v_fmac_f16_e32 v14, v10, v12
	v_fma_f16 v10, v12, v13, -v15
	v_cvt_f32_f16_e32 v12, v14
	v_cvt_f32_f16_e32 v10, v10
	v_cvt_f64_f32_e32 v[12:13], v12
	v_cvt_f64_f32_e32 v[14:15], v10
	v_mul_f64 v[12:13], v[12:13], s[8:9]
	v_mul_f64 v[14:15], v[14:15], s[8:9]
	v_and_or_b32 v10, 0x1ff, v13, v12
	v_and_or_b32 v14, 0x1ff, v15, v14
	v_lshrrev_b32_e32 v12, 8, v13
	v_bfe_u32 v16, v13, 20, 11
	v_lshrrev_b32_e32 v17, 8, v15
	v_cmp_ne_u32_e32 vcc_lo, 0, v10
	v_bfe_u32 v18, v15, 20, 11
	v_lshrrev_b32_e32 v13, 16, v13
	v_sub_nc_u32_e32 v19, 0x3f1, v16
	v_add_nc_u32_e32 v16, 0xfffffc10, v16
	v_cndmask_b32_e64 v10, 0, 1, vcc_lo
	v_cmp_ne_u32_e32 vcc_lo, 0, v14
	v_lshrrev_b32_e32 v15, 16, v15
	v_and_or_b32 v10, 0xffe, v12, v10
	v_cndmask_b32_e64 v14, 0, 1, vcc_lo
	v_sub_nc_u32_e32 v12, 0x3f1, v18
	v_add_nc_u32_e32 v18, 0xfffffc10, v18
	v_and_or_b32 v14, 0xffe, v17, v14
	v_med3_i32 v17, v19, 0, 13
	v_or_b32_e32 v19, 0x1000, v10
	v_med3_i32 v12, v12, 0, 13
	v_or_b32_e32 v20, 0x1000, v14
	v_lshrrev_b32_e32 v21, v17, v19
	v_lshrrev_b32_e32 v22, v12, v20
	v_lshlrev_b32_e32 v17, v17, v21
	v_lshlrev_b32_e32 v12, v12, v22
	v_cmp_ne_u32_e32 vcc_lo, v17, v19
	v_lshl_or_b32 v19, v16, 12, v10
	v_cndmask_b32_e64 v17, 0, 1, vcc_lo
	v_cmp_ne_u32_e32 vcc_lo, v12, v20
	v_lshl_or_b32 v20, v18, 12, v14
	v_or_b32_e32 v17, v21, v17
	v_cndmask_b32_e64 v12, 0, 1, vcc_lo
	v_cmp_gt_i32_e32 vcc_lo, 1, v16
	v_or_b32_e32 v12, v22, v12
	v_cndmask_b32_e32 v17, v19, v17, vcc_lo
	v_cmp_gt_i32_e32 vcc_lo, 1, v18
	v_and_b32_e32 v19, 7, v17
	v_cndmask_b32_e32 v12, v20, v12, vcc_lo
	v_cmp_ne_u32_e32 vcc_lo, 0, v10
	v_lshrrev_b32_e32 v17, 2, v17
	v_cmp_eq_u32_e64 s0, 3, v19
	v_and_b32_e32 v20, 7, v12
	v_cndmask_b32_e64 v10, 0, 1, vcc_lo
	v_cmp_ne_u32_e32 vcc_lo, 0, v14
	v_lshrrev_b32_e32 v12, 2, v12
	v_cmp_lt_i32_e64 s1, 5, v20
	v_cmp_eq_u32_e64 s2, 3, v20
	v_cndmask_b32_e64 v14, 0, 1, vcc_lo
	v_cmp_lt_i32_e32 vcc_lo, 5, v19
	v_lshl_or_b32 v10, v10, 9, 0x7c00
	v_lshl_or_b32 v14, v14, 9, 0x7c00
	s_or_b32 vcc_lo, s0, vcc_lo
	s_mul_i32 s0, s5, 0x140
	v_add_co_ci_u32_e32 v17, vcc_lo, 0, v17, vcc_lo
	s_or_b32 vcc_lo, s2, s1
	s_add_i32 s3, s3, s0
	v_add_co_ci_u32_e32 v12, vcc_lo, 0, v12, vcc_lo
	v_cmp_gt_i32_e32 vcc_lo, 31, v16
	v_cndmask_b32_e32 v17, 0x7c00, v17, vcc_lo
	v_cmp_gt_i32_e32 vcc_lo, 31, v18
	v_cndmask_b32_e32 v12, 0x7c00, v12, vcc_lo
	v_cmp_eq_u32_e32 vcc_lo, 0x40f, v16
	v_cndmask_b32_e32 v10, v17, v10, vcc_lo
	v_cmp_eq_u32_e32 vcc_lo, 0x40f, v18
	v_and_or_b32 v10, 0x8000, v13, v10
	v_cndmask_b32_e32 v12, v12, v14, vcc_lo
	v_add_co_u32 v8, vcc_lo, v8, s6
	v_add_co_ci_u32_e32 v9, vcc_lo, s3, v9, vcc_lo
	v_and_or_b32 v12, 0x8000, v15, v12
	v_and_b32_e32 v10, 0xffff, v10
	v_lshl_or_b32 v10, v12, 16, v10
	v_lshrrev_b32_e32 v12, 16, v11
	global_store_dword v[8:9], v10, off
	global_load_dword v10, v50, s[12:13] offset:640
	s_waitcnt vmcnt(0)
	v_mul_f16_sdwa v13, v12, v10 dst_sel:DWORD dst_unused:UNUSED_PAD src0_sel:DWORD src1_sel:WORD_1
	v_mul_f16_sdwa v14, v11, v10 dst_sel:DWORD dst_unused:UNUSED_PAD src0_sel:DWORD src1_sel:WORD_1
	v_fmac_f16_e32 v13, v11, v10
	v_fma_f16 v10, v10, v12, -v14
	v_cvt_f32_f16_e32 v11, v13
	v_cvt_f32_f16_e32 v12, v10
	v_cvt_f64_f32_e32 v[10:11], v11
	v_cvt_f64_f32_e32 v[12:13], v12
	v_mul_f64 v[10:11], v[10:11], s[8:9]
	v_mul_f64 v[12:13], v[12:13], s[8:9]
	v_and_or_b32 v10, 0x1ff, v11, v10
	v_and_or_b32 v12, 0x1ff, v13, v12
	v_lshrrev_b32_e32 v14, 8, v11
	v_bfe_u32 v15, v11, 20, 11
	v_lshrrev_b32_e32 v16, 8, v13
	v_cmp_ne_u32_e32 vcc_lo, 0, v10
	v_bfe_u32 v17, v13, 20, 11
	v_lshrrev_b32_e32 v11, 16, v11
	v_sub_nc_u32_e32 v18, 0x3f1, v15
	v_add_nc_u32_e32 v15, 0xfffffc10, v15
	v_cndmask_b32_e64 v10, 0, 1, vcc_lo
	v_cmp_ne_u32_e32 vcc_lo, 0, v12
	v_lshrrev_b32_e32 v13, 16, v13
	v_and_or_b32 v10, 0xffe, v14, v10
	v_cndmask_b32_e64 v12, 0, 1, vcc_lo
	v_sub_nc_u32_e32 v14, 0x3f1, v17
	v_add_nc_u32_e32 v17, 0xfffffc10, v17
	v_and_or_b32 v12, 0xffe, v16, v12
	v_med3_i32 v16, v18, 0, 13
	v_or_b32_e32 v18, 0x1000, v10
	v_med3_i32 v14, v14, 0, 13
	v_or_b32_e32 v19, 0x1000, v12
	v_lshrrev_b32_e32 v20, v16, v18
	v_lshrrev_b32_e32 v21, v14, v19
	v_lshlrev_b32_e32 v16, v16, v20
	v_lshlrev_b32_e32 v14, v14, v21
	v_cmp_ne_u32_e32 vcc_lo, v16, v18
	v_lshl_or_b32 v18, v15, 12, v10
	v_cndmask_b32_e64 v16, 0, 1, vcc_lo
	v_cmp_ne_u32_e32 vcc_lo, v14, v19
	v_lshl_or_b32 v19, v17, 12, v12
	v_or_b32_e32 v16, v20, v16
	v_cndmask_b32_e64 v14, 0, 1, vcc_lo
	v_cmp_gt_i32_e32 vcc_lo, 1, v15
	v_or_b32_e32 v14, v21, v14
	v_cndmask_b32_e32 v16, v18, v16, vcc_lo
	v_cmp_gt_i32_e32 vcc_lo, 1, v17
	v_and_b32_e32 v18, 7, v16
	v_cndmask_b32_e32 v14, v19, v14, vcc_lo
	v_cmp_ne_u32_e32 vcc_lo, 0, v10
	v_lshrrev_b32_e32 v16, 2, v16
	v_cmp_eq_u32_e64 s0, 3, v18
	v_and_b32_e32 v19, 7, v14
	v_cndmask_b32_e64 v10, 0, 1, vcc_lo
	v_cmp_ne_u32_e32 vcc_lo, 0, v12
	v_lshrrev_b32_e32 v14, 2, v14
	v_cmp_lt_i32_e64 s1, 5, v19
	v_cmp_eq_u32_e64 s2, 3, v19
	v_cndmask_b32_e64 v12, 0, 1, vcc_lo
	v_cmp_lt_i32_e32 vcc_lo, 5, v18
	v_lshl_or_b32 v10, v10, 9, 0x7c00
	v_lshl_or_b32 v12, v12, 9, 0x7c00
	s_or_b32 vcc_lo, s0, vcc_lo
	v_add_co_ci_u32_e32 v16, vcc_lo, 0, v16, vcc_lo
	s_or_b32 vcc_lo, s2, s1
	v_add_co_ci_u32_e32 v14, vcc_lo, 0, v14, vcc_lo
	v_cmp_gt_i32_e32 vcc_lo, 31, v15
	v_cndmask_b32_e32 v16, 0x7c00, v16, vcc_lo
	v_cmp_gt_i32_e32 vcc_lo, 31, v17
	v_cndmask_b32_e32 v14, 0x7c00, v14, vcc_lo
	v_cmp_eq_u32_e32 vcc_lo, 0x40f, v15
	v_cndmask_b32_e32 v10, v16, v10, vcc_lo
	v_cmp_eq_u32_e32 vcc_lo, 0x40f, v17
	v_and_or_b32 v10, 0x8000, v11, v10
	v_cndmask_b32_e32 v12, v14, v12, vcc_lo
	v_add_co_u32 v8, vcc_lo, v8, s6
	v_add_co_ci_u32_e32 v9, vcc_lo, s3, v9, vcc_lo
	v_and_or_b32 v11, 0x8000, v13, v12
	v_and_b32_e32 v10, 0xffff, v10
	v_lshl_or_b32 v10, v11, 16, v10
	global_store_dword v[8:9], v10, off
	global_load_dword v12, v50, s[12:13] offset:960
	ds_read2_b32 v[10:11], v1 offset0:112 offset1:192
	s_waitcnt lgkmcnt(0)
	v_lshrrev_b32_e32 v1, 16, v10
	s_waitcnt vmcnt(0)
	v_mul_f16_sdwa v13, v1, v12 dst_sel:DWORD dst_unused:UNUSED_PAD src0_sel:DWORD src1_sel:WORD_1
	v_mul_f16_sdwa v14, v10, v12 dst_sel:DWORD dst_unused:UNUSED_PAD src0_sel:DWORD src1_sel:WORD_1
	v_fmac_f16_e32 v13, v10, v12
	v_fma_f16 v1, v12, v1, -v14
	v_cvt_f32_f16_e32 v10, v13
	v_cvt_f32_f16_e32 v1, v1
	v_cvt_f64_f32_e32 v[12:13], v10
	v_cvt_f64_f32_e32 v[14:15], v1
	v_mul_f64 v[12:13], v[12:13], s[8:9]
	v_mul_f64 v[14:15], v[14:15], s[8:9]
	v_and_or_b32 v1, 0x1ff, v13, v12
	v_and_or_b32 v14, 0x1ff, v15, v14
	v_lshrrev_b32_e32 v10, 8, v13
	v_bfe_u32 v12, v13, 20, 11
	v_lshrrev_b32_e32 v16, 8, v15
	v_cmp_ne_u32_e32 vcc_lo, 0, v1
	v_bfe_u32 v17, v15, 20, 11
	v_lshrrev_b32_e32 v13, 16, v13
	v_sub_nc_u32_e32 v18, 0x3f1, v12
	v_add_nc_u32_e32 v12, 0xfffffc10, v12
	v_cndmask_b32_e64 v1, 0, 1, vcc_lo
	v_cmp_ne_u32_e32 vcc_lo, 0, v14
	v_and_or_b32 v1, 0xffe, v10, v1
	v_cndmask_b32_e64 v14, 0, 1, vcc_lo
	v_sub_nc_u32_e32 v10, 0x3f1, v17
	v_add_nc_u32_e32 v17, 0xfffffc10, v17
	v_and_or_b32 v14, 0xffe, v16, v14
	v_med3_i32 v16, v18, 0, 13
	v_or_b32_e32 v18, 0x1000, v1
	v_med3_i32 v10, v10, 0, 13
	v_or_b32_e32 v19, 0x1000, v14
	v_lshrrev_b32_e32 v20, v16, v18
	v_lshrrev_b32_e32 v21, v10, v19
	v_lshlrev_b32_e32 v16, v16, v20
	v_lshlrev_b32_e32 v10, v10, v21
	v_cmp_ne_u32_e32 vcc_lo, v16, v18
	v_lshl_or_b32 v18, v12, 12, v1
	v_cndmask_b32_e64 v16, 0, 1, vcc_lo
	v_cmp_ne_u32_e32 vcc_lo, v10, v19
	v_lshl_or_b32 v19, v17, 12, v14
	v_or_b32_e32 v16, v20, v16
	v_cndmask_b32_e64 v10, 0, 1, vcc_lo
	v_cmp_gt_i32_e32 vcc_lo, 1, v12
	v_or_b32_e32 v10, v21, v10
	v_cndmask_b32_e32 v16, v18, v16, vcc_lo
	v_cmp_gt_i32_e32 vcc_lo, 1, v17
	v_and_b32_e32 v18, 7, v16
	v_cndmask_b32_e32 v10, v19, v10, vcc_lo
	v_cmp_ne_u32_e32 vcc_lo, 0, v1
	v_lshrrev_b32_e32 v16, 2, v16
	v_cmp_eq_u32_e64 s0, 3, v18
	v_and_b32_e32 v19, 7, v10
	v_cndmask_b32_e64 v1, 0, 1, vcc_lo
	v_cmp_ne_u32_e32 vcc_lo, 0, v14
	v_lshrrev_b32_e32 v10, 2, v10
	v_cmp_lt_i32_e64 s1, 5, v19
	v_cmp_eq_u32_e64 s2, 3, v19
	v_cndmask_b32_e64 v14, 0, 1, vcc_lo
	v_cmp_lt_i32_e32 vcc_lo, 5, v18
	v_lshl_or_b32 v1, v1, 9, 0x7c00
	v_lshl_or_b32 v14, v14, 9, 0x7c00
	s_or_b32 vcc_lo, s0, vcc_lo
	v_add_co_ci_u32_e32 v16, vcc_lo, 0, v16, vcc_lo
	s_or_b32 vcc_lo, s2, s1
	v_add_co_ci_u32_e32 v10, vcc_lo, 0, v10, vcc_lo
	v_cmp_gt_i32_e32 vcc_lo, 31, v12
	v_cndmask_b32_e32 v16, 0x7c00, v16, vcc_lo
	v_cmp_gt_i32_e32 vcc_lo, 31, v17
	v_cndmask_b32_e32 v10, 0x7c00, v10, vcc_lo
	v_cmp_eq_u32_e32 vcc_lo, 0x40f, v12
	v_lshrrev_b32_e32 v12, 16, v15
	v_cndmask_b32_e32 v1, v16, v1, vcc_lo
	v_cmp_eq_u32_e32 vcc_lo, 0x40f, v17
	v_and_or_b32 v1, 0x8000, v13, v1
	v_cndmask_b32_e32 v10, v10, v14, vcc_lo
	v_add_co_u32 v8, vcc_lo, v8, s6
	v_add_co_ci_u32_e32 v9, vcc_lo, s3, v9, vcc_lo
	v_and_or_b32 v10, 0x8000, v12, v10
	v_and_b32_e32 v1, 0xffff, v1
	v_lshl_or_b32 v1, v10, 16, v1
	v_lshrrev_b32_e32 v10, 16, v11
	global_store_dword v[8:9], v1, off
	global_load_dword v1, v50, s[12:13] offset:1280
	s_waitcnt vmcnt(0)
	v_mul_f16_sdwa v12, v10, v1 dst_sel:DWORD dst_unused:UNUSED_PAD src0_sel:DWORD src1_sel:WORD_1
	v_mul_f16_sdwa v13, v11, v1 dst_sel:DWORD dst_unused:UNUSED_PAD src0_sel:DWORD src1_sel:WORD_1
	v_fmac_f16_e32 v12, v11, v1
	v_fma_f16 v1, v1, v10, -v13
	v_cvt_f32_f16_e32 v10, v12
	v_cvt_f32_f16_e32 v1, v1
	v_cvt_f64_f32_e32 v[10:11], v10
	v_cvt_f64_f32_e32 v[12:13], v1
	v_mul_f64 v[10:11], v[10:11], s[8:9]
	v_mul_f64 v[12:13], v[12:13], s[8:9]
	v_and_or_b32 v1, 0x1ff, v11, v10
	v_and_or_b32 v12, 0x1ff, v13, v12
	v_lshrrev_b32_e32 v10, 8, v11
	v_bfe_u32 v14, v11, 20, 11
	v_lshrrev_b32_e32 v15, 8, v13
	v_cmp_ne_u32_e32 vcc_lo, 0, v1
	v_bfe_u32 v16, v13, 20, 11
	v_lshrrev_b32_e32 v11, 16, v11
	v_sub_nc_u32_e32 v17, 0x3f1, v14
	v_add_nc_u32_e32 v14, 0xfffffc10, v14
	v_cndmask_b32_e64 v1, 0, 1, vcc_lo
	v_cmp_ne_u32_e32 vcc_lo, 0, v12
	v_lshrrev_b32_e32 v13, 16, v13
	v_and_or_b32 v1, 0xffe, v10, v1
	v_cndmask_b32_e64 v12, 0, 1, vcc_lo
	v_sub_nc_u32_e32 v10, 0x3f1, v16
	v_add_nc_u32_e32 v16, 0xfffffc10, v16
	v_and_or_b32 v12, 0xffe, v15, v12
	v_med3_i32 v15, v17, 0, 13
	v_or_b32_e32 v17, 0x1000, v1
	v_med3_i32 v10, v10, 0, 13
	v_or_b32_e32 v18, 0x1000, v12
	v_lshrrev_b32_e32 v19, v15, v17
	v_lshrrev_b32_e32 v20, v10, v18
	v_lshlrev_b32_e32 v15, v15, v19
	v_lshlrev_b32_e32 v10, v10, v20
	v_cmp_ne_u32_e32 vcc_lo, v15, v17
	v_lshl_or_b32 v17, v14, 12, v1
	v_cndmask_b32_e64 v15, 0, 1, vcc_lo
	v_cmp_ne_u32_e32 vcc_lo, v10, v18
	v_lshl_or_b32 v18, v16, 12, v12
	v_or_b32_e32 v15, v19, v15
	v_cndmask_b32_e64 v10, 0, 1, vcc_lo
	v_cmp_gt_i32_e32 vcc_lo, 1, v14
	v_or_b32_e32 v10, v20, v10
	v_cndmask_b32_e32 v15, v17, v15, vcc_lo
	v_cmp_gt_i32_e32 vcc_lo, 1, v16
	v_and_b32_e32 v17, 7, v15
	v_cndmask_b32_e32 v10, v18, v10, vcc_lo
	v_cmp_ne_u32_e32 vcc_lo, 0, v1
	v_lshrrev_b32_e32 v15, 2, v15
	v_cmp_eq_u32_e64 s0, 3, v17
	v_and_b32_e32 v18, 7, v10
	v_cndmask_b32_e64 v1, 0, 1, vcc_lo
	v_cmp_ne_u32_e32 vcc_lo, 0, v12
	v_lshrrev_b32_e32 v10, 2, v10
	v_cmp_lt_i32_e64 s1, 5, v18
	v_cmp_eq_u32_e64 s2, 3, v18
	v_cndmask_b32_e64 v12, 0, 1, vcc_lo
	v_cmp_lt_i32_e32 vcc_lo, 5, v17
	v_lshl_or_b32 v1, v1, 9, 0x7c00
	v_lshl_or_b32 v12, v12, 9, 0x7c00
	s_or_b32 vcc_lo, s0, vcc_lo
	v_add_co_ci_u32_e32 v15, vcc_lo, 0, v15, vcc_lo
	s_or_b32 vcc_lo, s2, s1
	v_add_co_ci_u32_e32 v10, vcc_lo, 0, v10, vcc_lo
	v_cmp_gt_i32_e32 vcc_lo, 31, v14
	v_cndmask_b32_e32 v15, 0x7c00, v15, vcc_lo
	v_cmp_gt_i32_e32 vcc_lo, 31, v16
	v_cndmask_b32_e32 v10, 0x7c00, v10, vcc_lo
	v_cmp_eq_u32_e32 vcc_lo, 0x40f, v14
	v_cndmask_b32_e32 v1, v15, v1, vcc_lo
	v_cmp_eq_u32_e32 vcc_lo, 0x40f, v16
	v_and_or_b32 v1, 0x8000, v11, v1
	v_cndmask_b32_e32 v10, v10, v12, vcc_lo
	v_add_co_u32 v8, vcc_lo, v8, s6
	v_add_co_ci_u32_e32 v9, vcc_lo, s3, v9, vcc_lo
	v_and_or_b32 v10, 0x8000, v13, v10
	v_and_b32_e32 v1, 0xffff, v1
	v_lshl_or_b32 v1, v10, 16, v1
	global_store_dword v[8:9], v1, off
	global_load_dword v10, v50, s[12:13] offset:1600
	ds_read2_b32 v[0:1], v0 offset0:144 offset1:224
	s_waitcnt lgkmcnt(0)
	v_lshrrev_b32_e32 v11, 16, v0
	s_waitcnt vmcnt(0)
	v_mul_f16_sdwa v12, v11, v10 dst_sel:DWORD dst_unused:UNUSED_PAD src0_sel:DWORD src1_sel:WORD_1
	v_mul_f16_sdwa v13, v0, v10 dst_sel:DWORD dst_unused:UNUSED_PAD src0_sel:DWORD src1_sel:WORD_1
	v_fmac_f16_e32 v12, v0, v10
	v_fma_f16 v0, v10, v11, -v13
	v_cvt_f32_f16_e32 v10, v12
	v_cvt_f32_f16_e32 v0, v0
	v_cvt_f64_f32_e32 v[10:11], v10
	v_cvt_f64_f32_e32 v[12:13], v0
	v_mul_f64 v[10:11], v[10:11], s[8:9]
	v_mul_f64 v[12:13], v[12:13], s[8:9]
	v_and_or_b32 v0, 0x1ff, v11, v10
	v_and_or_b32 v12, 0x1ff, v13, v12
	v_lshrrev_b32_e32 v10, 8, v11
	v_bfe_u32 v14, v11, 20, 11
	v_lshrrev_b32_e32 v15, 8, v13
	v_cmp_ne_u32_e32 vcc_lo, 0, v0
	v_bfe_u32 v16, v13, 20, 11
	v_lshrrev_b32_e32 v11, 16, v11
	v_sub_nc_u32_e32 v17, 0x3f1, v14
	v_add_nc_u32_e32 v14, 0xfffffc10, v14
	v_cndmask_b32_e64 v0, 0, 1, vcc_lo
	v_cmp_ne_u32_e32 vcc_lo, 0, v12
	v_lshrrev_b32_e32 v13, 16, v13
	v_and_or_b32 v0, 0xffe, v10, v0
	v_cndmask_b32_e64 v12, 0, 1, vcc_lo
	v_sub_nc_u32_e32 v10, 0x3f1, v16
	v_add_nc_u32_e32 v16, 0xfffffc10, v16
	v_and_or_b32 v12, 0xffe, v15, v12
	v_med3_i32 v15, v17, 0, 13
	v_or_b32_e32 v17, 0x1000, v0
	v_med3_i32 v10, v10, 0, 13
	v_or_b32_e32 v18, 0x1000, v12
	v_lshrrev_b32_e32 v19, v15, v17
	v_lshrrev_b32_e32 v20, v10, v18
	v_lshlrev_b32_e32 v15, v15, v19
	v_lshlrev_b32_e32 v10, v10, v20
	v_cmp_ne_u32_e32 vcc_lo, v15, v17
	v_lshl_or_b32 v17, v14, 12, v0
	v_cndmask_b32_e64 v15, 0, 1, vcc_lo
	v_cmp_ne_u32_e32 vcc_lo, v10, v18
	v_lshl_or_b32 v18, v16, 12, v12
	v_or_b32_e32 v15, v19, v15
	v_cndmask_b32_e64 v10, 0, 1, vcc_lo
	v_cmp_gt_i32_e32 vcc_lo, 1, v14
	v_or_b32_e32 v10, v20, v10
	v_cndmask_b32_e32 v15, v17, v15, vcc_lo
	v_cmp_gt_i32_e32 vcc_lo, 1, v16
	v_and_b32_e32 v17, 7, v15
	v_cndmask_b32_e32 v10, v18, v10, vcc_lo
	v_cmp_ne_u32_e32 vcc_lo, 0, v0
	v_lshrrev_b32_e32 v15, 2, v15
	v_cmp_eq_u32_e64 s0, 3, v17
	v_and_b32_e32 v18, 7, v10
	v_cndmask_b32_e64 v0, 0, 1, vcc_lo
	v_cmp_ne_u32_e32 vcc_lo, 0, v12
	v_lshrrev_b32_e32 v10, 2, v10
	v_cmp_lt_i32_e64 s1, 5, v18
	v_cmp_eq_u32_e64 s2, 3, v18
	v_cndmask_b32_e64 v12, 0, 1, vcc_lo
	v_cmp_lt_i32_e32 vcc_lo, 5, v17
	v_lshl_or_b32 v0, v0, 9, 0x7c00
	v_lshl_or_b32 v12, v12, 9, 0x7c00
	s_or_b32 vcc_lo, s0, vcc_lo
	v_add_co_ci_u32_e32 v15, vcc_lo, 0, v15, vcc_lo
	s_or_b32 vcc_lo, s2, s1
	v_add_co_ci_u32_e32 v10, vcc_lo, 0, v10, vcc_lo
	v_cmp_gt_i32_e32 vcc_lo, 31, v14
	v_cndmask_b32_e32 v15, 0x7c00, v15, vcc_lo
	v_cmp_gt_i32_e32 vcc_lo, 31, v16
	v_cndmask_b32_e32 v10, 0x7c00, v10, vcc_lo
	v_cmp_eq_u32_e32 vcc_lo, 0x40f, v14
	v_cndmask_b32_e32 v0, v15, v0, vcc_lo
	v_cmp_eq_u32_e32 vcc_lo, 0x40f, v16
	v_and_or_b32 v0, 0x8000, v11, v0
	v_cndmask_b32_e32 v10, v10, v12, vcc_lo
	v_and_b32_e32 v0, 0xffff, v0
	v_and_or_b32 v12, 0x8000, v13, v10
	v_add_co_u32 v10, vcc_lo, v8, s6
	v_add_co_ci_u32_e32 v11, vcc_lo, s3, v9, vcc_lo
	v_lshl_or_b32 v0, v12, 16, v0
	v_lshrrev_b32_e32 v8, 16, v1
	global_store_dword v[10:11], v0, off
	global_load_dword v0, v50, s[12:13] offset:1920
	s_waitcnt vmcnt(0)
	v_mul_f16_sdwa v9, v8, v0 dst_sel:DWORD dst_unused:UNUSED_PAD src0_sel:DWORD src1_sel:WORD_1
	v_mul_f16_sdwa v12, v1, v0 dst_sel:DWORD dst_unused:UNUSED_PAD src0_sel:DWORD src1_sel:WORD_1
	v_fmac_f16_e32 v9, v1, v0
	v_fma_f16 v0, v0, v8, -v12
	v_cvt_f32_f16_e32 v1, v9
	v_cvt_f32_f16_e32 v8, v0
	v_cvt_f64_f32_e32 v[0:1], v1
	v_cvt_f64_f32_e32 v[8:9], v8
	v_mul_f64 v[0:1], v[0:1], s[8:9]
	v_mul_f64 v[8:9], v[8:9], s[8:9]
	v_and_or_b32 v0, 0x1ff, v1, v0
	v_and_or_b32 v8, 0x1ff, v9, v8
	v_lshrrev_b32_e32 v12, 8, v1
	v_bfe_u32 v13, v1, 20, 11
	v_lshrrev_b32_e32 v14, 8, v9
	v_cmp_ne_u32_e32 vcc_lo, 0, v0
	v_bfe_u32 v15, v9, 20, 11
	v_lshrrev_b32_e32 v1, 16, v1
	v_sub_nc_u32_e32 v16, 0x3f1, v13
	v_add_nc_u32_e32 v13, 0xfffffc10, v13
	v_cndmask_b32_e64 v0, 0, 1, vcc_lo
	v_cmp_ne_u32_e32 vcc_lo, 0, v8
	v_and_or_b32 v0, 0xffe, v12, v0
	v_cndmask_b32_e64 v8, 0, 1, vcc_lo
	v_sub_nc_u32_e32 v12, 0x3f1, v15
	v_add_nc_u32_e32 v15, 0xfffffc10, v15
	v_and_or_b32 v8, 0xffe, v14, v8
	v_med3_i32 v14, v16, 0, 13
	v_or_b32_e32 v16, 0x1000, v0
	v_med3_i32 v12, v12, 0, 13
	v_or_b32_e32 v17, 0x1000, v8
	v_lshrrev_b32_e32 v18, v14, v16
	v_lshrrev_b32_e32 v19, v12, v17
	v_lshlrev_b32_e32 v14, v14, v18
	v_lshlrev_b32_e32 v12, v12, v19
	v_cmp_ne_u32_e32 vcc_lo, v14, v16
	v_lshl_or_b32 v16, v13, 12, v0
	v_cndmask_b32_e64 v14, 0, 1, vcc_lo
	v_cmp_ne_u32_e32 vcc_lo, v12, v17
	v_lshl_or_b32 v17, v15, 12, v8
	v_or_b32_e32 v14, v18, v14
	v_cndmask_b32_e64 v12, 0, 1, vcc_lo
	v_cmp_gt_i32_e32 vcc_lo, 1, v13
	v_or_b32_e32 v12, v19, v12
	v_cndmask_b32_e32 v14, v16, v14, vcc_lo
	v_cmp_gt_i32_e32 vcc_lo, 1, v15
	v_and_b32_e32 v16, 7, v14
	v_cndmask_b32_e32 v12, v17, v12, vcc_lo
	v_cmp_ne_u32_e32 vcc_lo, 0, v0
	v_lshrrev_b32_e32 v14, 2, v14
	v_cmp_eq_u32_e64 s0, 3, v16
	v_and_b32_e32 v17, 7, v12
	v_cndmask_b32_e64 v0, 0, 1, vcc_lo
	v_cmp_ne_u32_e32 vcc_lo, 0, v8
	v_lshrrev_b32_e32 v12, 2, v12
	v_cmp_lt_i32_e64 s1, 5, v17
	v_cmp_eq_u32_e64 s2, 3, v17
	v_cndmask_b32_e64 v8, 0, 1, vcc_lo
	v_cmp_lt_i32_e32 vcc_lo, 5, v16
	v_lshl_or_b32 v0, v0, 9, 0x7c00
	v_lshl_or_b32 v8, v8, 9, 0x7c00
	s_or_b32 vcc_lo, s0, vcc_lo
	v_add_co_ci_u32_e32 v14, vcc_lo, 0, v14, vcc_lo
	s_or_b32 vcc_lo, s2, s1
	v_add_co_ci_u32_e32 v12, vcc_lo, 0, v12, vcc_lo
	v_cmp_gt_i32_e32 vcc_lo, 31, v13
	v_cndmask_b32_e32 v14, 0x7c00, v14, vcc_lo
	v_cmp_gt_i32_e32 vcc_lo, 31, v15
	v_cndmask_b32_e32 v12, 0x7c00, v12, vcc_lo
	v_cmp_eq_u32_e32 vcc_lo, 0x40f, v13
	v_lshrrev_b32_e32 v13, 16, v9
	v_cndmask_b32_e32 v0, v14, v0, vcc_lo
	v_cmp_eq_u32_e32 vcc_lo, 0x40f, v15
	v_and_or_b32 v0, 0x8000, v1, v0
	v_cndmask_b32_e32 v12, v12, v8, vcc_lo
	v_add_co_u32 v8, s0, s12, v50
	v_add_co_ci_u32_e64 v9, null, s13, 0, s0
	v_and_or_b32 v1, 0x8000, v13, v12
	v_and_b32_e32 v0, 0xffff, v0
	v_add_co_u32 v10, vcc_lo, v10, s6
	v_add_co_ci_u32_e32 v11, vcc_lo, s3, v11, vcc_lo
	v_lshl_or_b32 v12, v1, 16, v0
	v_add_co_u32 v0, vcc_lo, 0x800, v8
	v_add_co_ci_u32_e32 v1, vcc_lo, 0, v9, vcc_lo
	global_store_dword v[10:11], v12, off
	ds_read2_b32 v[12:13], v7 offset0:48 offset1:128
	global_load_dword v14, v[0:1], off offset:192
	s_waitcnt lgkmcnt(0)
	v_lshrrev_b32_e32 v7, 16, v12
	s_waitcnt vmcnt(0)
	v_mul_f16_sdwa v15, v7, v14 dst_sel:DWORD dst_unused:UNUSED_PAD src0_sel:DWORD src1_sel:WORD_1
	v_mul_f16_sdwa v16, v12, v14 dst_sel:DWORD dst_unused:UNUSED_PAD src0_sel:DWORD src1_sel:WORD_1
	v_fmac_f16_e32 v15, v12, v14
	v_fma_f16 v7, v14, v7, -v16
	v_cvt_f32_f16_e32 v12, v15
	v_cvt_f32_f16_e32 v7, v7
	v_cvt_f64_f32_e32 v[14:15], v12
	v_cvt_f64_f32_e32 v[16:17], v7
	v_mul_f64 v[14:15], v[14:15], s[8:9]
	v_mul_f64 v[16:17], v[16:17], s[8:9]
	v_and_or_b32 v7, 0x1ff, v15, v14
	v_and_or_b32 v16, 0x1ff, v17, v16
	v_lshrrev_b32_e32 v12, 8, v15
	v_bfe_u32 v14, v15, 20, 11
	v_lshrrev_b32_e32 v18, 8, v17
	v_cmp_ne_u32_e32 vcc_lo, 0, v7
	v_bfe_u32 v19, v17, 20, 11
	v_lshrrev_b32_e32 v15, 16, v15
	v_sub_nc_u32_e32 v20, 0x3f1, v14
	v_add_nc_u32_e32 v14, 0xfffffc10, v14
	v_cndmask_b32_e64 v7, 0, 1, vcc_lo
	v_cmp_ne_u32_e32 vcc_lo, 0, v16
	v_and_or_b32 v7, 0xffe, v12, v7
	v_cndmask_b32_e64 v16, 0, 1, vcc_lo
	v_sub_nc_u32_e32 v12, 0x3f1, v19
	v_add_nc_u32_e32 v19, 0xfffffc10, v19
	v_and_or_b32 v16, 0xffe, v18, v16
	v_med3_i32 v18, v20, 0, 13
	v_or_b32_e32 v20, 0x1000, v7
	v_med3_i32 v12, v12, 0, 13
	v_or_b32_e32 v21, 0x1000, v16
	v_lshrrev_b32_e32 v22, v18, v20
	v_lshrrev_b32_e32 v23, v12, v21
	v_lshlrev_b32_e32 v18, v18, v22
	v_lshlrev_b32_e32 v12, v12, v23
	v_cmp_ne_u32_e32 vcc_lo, v18, v20
	v_lshl_or_b32 v20, v14, 12, v7
	v_cndmask_b32_e64 v18, 0, 1, vcc_lo
	v_cmp_ne_u32_e32 vcc_lo, v12, v21
	v_lshl_or_b32 v21, v19, 12, v16
	v_or_b32_e32 v18, v22, v18
	v_cndmask_b32_e64 v12, 0, 1, vcc_lo
	v_cmp_gt_i32_e32 vcc_lo, 1, v14
	v_or_b32_e32 v12, v23, v12
	v_cndmask_b32_e32 v18, v20, v18, vcc_lo
	v_cmp_gt_i32_e32 vcc_lo, 1, v19
	v_and_b32_e32 v20, 7, v18
	v_cndmask_b32_e32 v12, v21, v12, vcc_lo
	v_cmp_ne_u32_e32 vcc_lo, 0, v7
	v_lshrrev_b32_e32 v18, 2, v18
	v_cmp_eq_u32_e64 s0, 3, v20
	v_and_b32_e32 v21, 7, v12
	v_cndmask_b32_e64 v7, 0, 1, vcc_lo
	v_cmp_ne_u32_e32 vcc_lo, 0, v16
	v_lshrrev_b32_e32 v12, 2, v12
	v_cmp_lt_i32_e64 s1, 5, v21
	v_cmp_eq_u32_e64 s2, 3, v21
	v_cndmask_b32_e64 v16, 0, 1, vcc_lo
	v_cmp_lt_i32_e32 vcc_lo, 5, v20
	v_lshl_or_b32 v7, v7, 9, 0x7c00
	v_lshl_or_b32 v16, v16, 9, 0x7c00
	s_or_b32 vcc_lo, s0, vcc_lo
	v_add_co_ci_u32_e32 v18, vcc_lo, 0, v18, vcc_lo
	s_or_b32 vcc_lo, s2, s1
	v_add_co_ci_u32_e32 v12, vcc_lo, 0, v12, vcc_lo
	v_cmp_gt_i32_e32 vcc_lo, 31, v14
	v_cndmask_b32_e32 v18, 0x7c00, v18, vcc_lo
	v_cmp_gt_i32_e32 vcc_lo, 31, v19
	v_cndmask_b32_e32 v12, 0x7c00, v12, vcc_lo
	v_cmp_eq_u32_e32 vcc_lo, 0x40f, v14
	v_lshrrev_b32_e32 v14, 16, v17
	v_cndmask_b32_e32 v7, v18, v7, vcc_lo
	v_cmp_eq_u32_e32 vcc_lo, 0x40f, v19
	v_and_or_b32 v7, 0x8000, v15, v7
	v_cndmask_b32_e32 v12, v12, v16, vcc_lo
	v_add_co_u32 v10, vcc_lo, v10, s6
	v_add_co_ci_u32_e32 v11, vcc_lo, s3, v11, vcc_lo
	v_and_or_b32 v12, 0x8000, v14, v12
	v_and_b32_e32 v7, 0xffff, v7
	v_lshl_or_b32 v7, v12, 16, v7
	v_lshlrev_b32_e32 v12, 2, v49
	global_store_dword v[10:11], v7, off
	global_load_dword v7, v12, s[12:13]
	v_lshrrev_b32_e32 v12, 16, v13
	v_mad_u64_u32 v[10:11], null, 0x280, s4, v[10:11]
	s_waitcnt vmcnt(0)
	v_mul_f16_sdwa v14, v12, v7 dst_sel:DWORD dst_unused:UNUSED_PAD src0_sel:DWORD src1_sel:WORD_1
	v_mul_f16_sdwa v15, v13, v7 dst_sel:DWORD dst_unused:UNUSED_PAD src0_sel:DWORD src1_sel:WORD_1
	v_fmac_f16_e32 v14, v13, v7
	v_fma_f16 v7, v7, v12, -v15
	v_cvt_f32_f16_e32 v12, v14
	v_cvt_f32_f16_e32 v7, v7
	v_cvt_f64_f32_e32 v[12:13], v12
	v_cvt_f64_f32_e32 v[14:15], v7
	v_mul_f64 v[12:13], v[12:13], s[8:9]
	v_mul_f64 v[14:15], v[14:15], s[8:9]
	v_and_or_b32 v7, 0x1ff, v13, v12
	v_and_or_b32 v14, 0x1ff, v15, v14
	v_lshrrev_b32_e32 v12, 8, v13
	v_bfe_u32 v18, v13, 20, 11
	v_lshrrev_b32_e32 v16, 8, v15
	v_cmp_ne_u32_e32 vcc_lo, 0, v7
	v_bfe_u32 v19, v15, 20, 11
	v_lshrrev_b32_e32 v13, 16, v13
	v_sub_nc_u32_e32 v17, 0x3f1, v18
	v_lshrrev_b32_e32 v15, 16, v15
	v_cndmask_b32_e64 v7, 0, 1, vcc_lo
	v_cmp_ne_u32_e32 vcc_lo, 0, v14
	v_sub_nc_u32_e32 v20, 0x3f1, v19
	v_add_nc_u32_e32 v19, 0xfffffc10, v19
	v_and_or_b32 v12, 0xffe, v12, v7
	v_cndmask_b32_e64 v14, 0, 1, vcc_lo
	v_med3_i32 v7, v17, 0, 13
	v_med3_i32 v20, v20, 0, 13
	v_or_b32_e32 v21, 0x1000, v12
	v_and_or_b32 v14, 0xffe, v16, v14
	v_mad_u64_u32 v[16:17], null, s4, v49, 0
	v_lshrrev_b32_e32 v23, v7, v21
	v_or_b32_e32 v22, 0x1000, v14
	v_lshlrev_b32_e32 v25, v7, v23
	v_lshrrev_b32_e32 v24, v20, v22
	v_mov_b32_e32 v7, v17
	v_cmp_ne_u32_e32 vcc_lo, v25, v21
	v_lshlrev_b32_e32 v17, v20, v24
	v_add_nc_u32_e32 v20, 0xfffffc10, v18
	v_cndmask_b32_e64 v21, 0, 1, vcc_lo
	v_cmp_ne_u32_e32 vcc_lo, v17, v22
	v_mad_u64_u32 v[17:18], null, s5, v49, v[7:8]
	v_lshl_or_b32 v7, v20, 12, v12
	v_or_b32_e32 v18, v23, v21
	v_cndmask_b32_e64 v22, 0, 1, vcc_lo
	v_cmp_gt_i32_e32 vcc_lo, 1, v20
	v_lshl_or_b32 v21, v19, 12, v14
	v_or_b32_e32 v22, v24, v22
	v_cndmask_b32_e32 v7, v7, v18, vcc_lo
	v_cmp_gt_i32_e32 vcc_lo, 1, v19
	v_cndmask_b32_e32 v18, v21, v22, vcc_lo
	v_cmp_ne_u32_e32 vcc_lo, 0, v12
	v_and_b32_e32 v21, 7, v7
	v_lshrrev_b32_e32 v7, 2, v7
	v_and_b32_e32 v22, 7, v18
	v_cndmask_b32_e64 v12, 0, 1, vcc_lo
	v_cmp_ne_u32_e32 vcc_lo, 0, v14
	v_cmp_eq_u32_e64 s0, 3, v21
	v_lshrrev_b32_e32 v18, 2, v18
	v_cmp_lt_i32_e64 s1, 5, v22
	v_cmp_eq_u32_e64 s2, 3, v22
	v_cndmask_b32_e64 v14, 0, 1, vcc_lo
	v_cmp_lt_i32_e32 vcc_lo, 5, v21
	v_lshl_or_b32 v12, v12, 9, 0x7c00
	v_lshl_or_b32 v14, v14, 9, 0x7c00
	s_or_b32 vcc_lo, s0, vcc_lo
	v_add_co_ci_u32_e32 v7, vcc_lo, 0, v7, vcc_lo
	s_or_b32 vcc_lo, s2, s1
	v_add_co_ci_u32_e32 v18, vcc_lo, 0, v18, vcc_lo
	v_cmp_gt_i32_e32 vcc_lo, 31, v20
	v_cndmask_b32_e32 v7, 0x7c00, v7, vcc_lo
	v_cmp_gt_i32_e32 vcc_lo, 31, v19
	v_cndmask_b32_e32 v18, 0x7c00, v18, vcc_lo
	v_cmp_eq_u32_e32 vcc_lo, 0x40f, v20
	v_cndmask_b32_e32 v7, v7, v12, vcc_lo
	v_cmp_eq_u32_e32 vcc_lo, 0x40f, v19
	v_and_or_b32 v7, 0x8000, v13, v7
	v_cndmask_b32_e32 v14, v18, v14, vcc_lo
	v_lshlrev_b64 v[12:13], 2, v[16:17]
	v_and_b32_e32 v7, 0xffff, v7
	v_and_or_b32 v14, 0x8000, v15, v14
	v_add_co_u32 v12, vcc_lo, v2, v12
	v_add_co_ci_u32_e32 v13, vcc_lo, v3, v13, vcc_lo
	v_lshl_or_b32 v7, v14, 16, v7
	global_store_dword v[12:13], v7, off
	global_load_dword v12, v[0:1], off offset:832
	ds_read2_b32 v[6:7], v6 offset0:80 offset1:160
	s_waitcnt lgkmcnt(0)
	v_lshrrev_b32_e32 v13, 16, v6
	s_waitcnt vmcnt(0)
	v_mul_f16_sdwa v14, v13, v12 dst_sel:DWORD dst_unused:UNUSED_PAD src0_sel:DWORD src1_sel:WORD_1
	v_mul_f16_sdwa v15, v6, v12 dst_sel:DWORD dst_unused:UNUSED_PAD src0_sel:DWORD src1_sel:WORD_1
	v_fmac_f16_e32 v14, v6, v12
	v_fma_f16 v6, v12, v13, -v15
	v_cvt_f32_f16_e32 v12, v14
	v_cvt_f32_f16_e32 v6, v6
	v_cvt_f64_f32_e32 v[12:13], v12
	v_cvt_f64_f32_e32 v[14:15], v6
	v_mul_f64 v[12:13], v[12:13], s[8:9]
	v_mul_f64 v[14:15], v[14:15], s[8:9]
	v_and_or_b32 v6, 0x1ff, v13, v12
	v_and_or_b32 v14, 0x1ff, v15, v14
	v_lshrrev_b32_e32 v12, 8, v13
	v_bfe_u32 v16, v13, 20, 11
	v_lshrrev_b32_e32 v17, 8, v15
	v_cmp_ne_u32_e32 vcc_lo, 0, v6
	v_bfe_u32 v18, v15, 20, 11
	v_lshrrev_b32_e32 v13, 16, v13
	v_sub_nc_u32_e32 v19, 0x3f1, v16
	v_add_nc_u32_e32 v16, 0xfffffc10, v16
	v_cndmask_b32_e64 v6, 0, 1, vcc_lo
	v_cmp_ne_u32_e32 vcc_lo, 0, v14
	v_lshrrev_b32_e32 v15, 16, v15
	v_and_or_b32 v6, 0xffe, v12, v6
	v_cndmask_b32_e64 v14, 0, 1, vcc_lo
	v_sub_nc_u32_e32 v12, 0x3f1, v18
	v_add_nc_u32_e32 v18, 0xfffffc10, v18
	v_and_or_b32 v14, 0xffe, v17, v14
	v_med3_i32 v17, v19, 0, 13
	v_or_b32_e32 v19, 0x1000, v6
	v_med3_i32 v12, v12, 0, 13
	v_or_b32_e32 v20, 0x1000, v14
	v_lshrrev_b32_e32 v21, v17, v19
	v_lshrrev_b32_e32 v22, v12, v20
	v_lshlrev_b32_e32 v17, v17, v21
	v_lshlrev_b32_e32 v12, v12, v22
	v_cmp_ne_u32_e32 vcc_lo, v17, v19
	v_lshl_or_b32 v19, v16, 12, v6
	v_cndmask_b32_e64 v17, 0, 1, vcc_lo
	v_cmp_ne_u32_e32 vcc_lo, v12, v20
	v_lshl_or_b32 v20, v18, 12, v14
	v_or_b32_e32 v17, v21, v17
	v_cndmask_b32_e64 v12, 0, 1, vcc_lo
	v_cmp_gt_i32_e32 vcc_lo, 1, v16
	v_or_b32_e32 v12, v22, v12
	v_cndmask_b32_e32 v17, v19, v17, vcc_lo
	v_cmp_gt_i32_e32 vcc_lo, 1, v18
	v_and_b32_e32 v19, 7, v17
	v_cndmask_b32_e32 v12, v20, v12, vcc_lo
	v_cmp_ne_u32_e32 vcc_lo, 0, v6
	v_lshrrev_b32_e32 v17, 2, v17
	v_cmp_eq_u32_e64 s0, 3, v19
	v_and_b32_e32 v20, 7, v12
	v_cndmask_b32_e64 v6, 0, 1, vcc_lo
	v_cmp_ne_u32_e32 vcc_lo, 0, v14
	v_lshrrev_b32_e32 v12, 2, v12
	v_cmp_lt_i32_e64 s1, 5, v20
	v_cmp_eq_u32_e64 s2, 3, v20
	v_cndmask_b32_e64 v14, 0, 1, vcc_lo
	v_cmp_lt_i32_e32 vcc_lo, 5, v19
	v_lshl_or_b32 v6, v6, 9, 0x7c00
	v_lshl_or_b32 v14, v14, 9, 0x7c00
	s_or_b32 vcc_lo, s0, vcc_lo
	v_add_co_ci_u32_e32 v17, vcc_lo, 0, v17, vcc_lo
	s_or_b32 vcc_lo, s2, s1
	v_add_co_ci_u32_e32 v12, vcc_lo, 0, v12, vcc_lo
	v_cmp_gt_i32_e32 vcc_lo, 31, v16
	v_cndmask_b32_e32 v17, 0x7c00, v17, vcc_lo
	v_cmp_gt_i32_e32 vcc_lo, 31, v18
	v_cndmask_b32_e32 v12, 0x7c00, v12, vcc_lo
	v_cmp_eq_u32_e32 vcc_lo, 0x40f, v16
	v_cndmask_b32_e32 v16, v17, v6, vcc_lo
	v_cmp_eq_u32_e32 vcc_lo, 0x40f, v18
	v_mov_b32_e32 v6, v11
	v_and_or_b32 v13, 0x8000, v13, v16
	v_cndmask_b32_e32 v14, v12, v14, vcc_lo
	v_mad_u64_u32 v[11:12], null, 0x280, s5, v[6:7]
	v_and_b32_e32 v12, 0xffff, v13
	v_and_or_b32 v6, 0x8000, v15, v14
	v_lshl_or_b32 v6, v6, 16, v12
	v_lshrrev_b32_e32 v12, 16, v7
	global_store_dword v[10:11], v6, off
	global_load_dword v6, v[0:1], off offset:1152
	s_waitcnt vmcnt(0)
	v_mul_f16_sdwa v13, v12, v6 dst_sel:DWORD dst_unused:UNUSED_PAD src0_sel:DWORD src1_sel:WORD_1
	v_mul_f16_sdwa v14, v7, v6 dst_sel:DWORD dst_unused:UNUSED_PAD src0_sel:DWORD src1_sel:WORD_1
	v_fmac_f16_e32 v13, v7, v6
	v_fma_f16 v6, v6, v12, -v14
	v_cvt_f32_f16_e32 v7, v13
	v_cvt_f32_f16_e32 v12, v6
	v_cvt_f64_f32_e32 v[6:7], v7
	v_cvt_f64_f32_e32 v[12:13], v12
	v_mul_f64 v[6:7], v[6:7], s[8:9]
	v_mul_f64 v[12:13], v[12:13], s[8:9]
	v_and_or_b32 v6, 0x1ff, v7, v6
	v_and_or_b32 v12, 0x1ff, v13, v12
	v_lshrrev_b32_e32 v14, 8, v7
	v_bfe_u32 v15, v7, 20, 11
	v_lshrrev_b32_e32 v16, 8, v13
	v_cmp_ne_u32_e32 vcc_lo, 0, v6
	v_bfe_u32 v17, v13, 20, 11
	v_lshrrev_b32_e32 v7, 16, v7
	v_sub_nc_u32_e32 v18, 0x3f1, v15
	v_add_nc_u32_e32 v15, 0xfffffc10, v15
	v_cndmask_b32_e64 v6, 0, 1, vcc_lo
	v_cmp_ne_u32_e32 vcc_lo, 0, v12
	v_lshrrev_b32_e32 v13, 16, v13
	v_and_or_b32 v6, 0xffe, v14, v6
	v_cndmask_b32_e64 v12, 0, 1, vcc_lo
	v_sub_nc_u32_e32 v14, 0x3f1, v17
	v_add_nc_u32_e32 v17, 0xfffffc10, v17
	v_and_or_b32 v12, 0xffe, v16, v12
	v_med3_i32 v16, v18, 0, 13
	v_or_b32_e32 v18, 0x1000, v6
	v_med3_i32 v14, v14, 0, 13
	v_or_b32_e32 v19, 0x1000, v12
	v_lshrrev_b32_e32 v20, v16, v18
	v_lshrrev_b32_e32 v21, v14, v19
	v_lshlrev_b32_e32 v16, v16, v20
	v_lshlrev_b32_e32 v14, v14, v21
	v_cmp_ne_u32_e32 vcc_lo, v16, v18
	v_lshl_or_b32 v18, v15, 12, v6
	v_cndmask_b32_e64 v16, 0, 1, vcc_lo
	v_cmp_ne_u32_e32 vcc_lo, v14, v19
	v_lshl_or_b32 v19, v17, 12, v12
	v_or_b32_e32 v16, v20, v16
	v_cndmask_b32_e64 v14, 0, 1, vcc_lo
	v_cmp_gt_i32_e32 vcc_lo, 1, v15
	v_or_b32_e32 v14, v21, v14
	v_cndmask_b32_e32 v16, v18, v16, vcc_lo
	v_cmp_gt_i32_e32 vcc_lo, 1, v17
	v_and_b32_e32 v18, 7, v16
	v_cndmask_b32_e32 v14, v19, v14, vcc_lo
	v_cmp_ne_u32_e32 vcc_lo, 0, v6
	v_lshrrev_b32_e32 v16, 2, v16
	v_cmp_eq_u32_e64 s0, 3, v18
	v_and_b32_e32 v19, 7, v14
	v_cndmask_b32_e64 v6, 0, 1, vcc_lo
	v_cmp_ne_u32_e32 vcc_lo, 0, v12
	v_lshrrev_b32_e32 v14, 2, v14
	v_cmp_lt_i32_e64 s1, 5, v19
	v_cmp_eq_u32_e64 s2, 3, v19
	v_cndmask_b32_e64 v12, 0, 1, vcc_lo
	v_cmp_lt_i32_e32 vcc_lo, 5, v18
	v_lshl_or_b32 v6, v6, 9, 0x7c00
	v_lshl_or_b32 v12, v12, 9, 0x7c00
	s_or_b32 vcc_lo, s0, vcc_lo
	v_add_co_ci_u32_e32 v16, vcc_lo, 0, v16, vcc_lo
	s_or_b32 vcc_lo, s2, s1
	v_add_co_ci_u32_e32 v14, vcc_lo, 0, v14, vcc_lo
	v_cmp_gt_i32_e32 vcc_lo, 31, v15
	v_cndmask_b32_e32 v16, 0x7c00, v16, vcc_lo
	v_cmp_gt_i32_e32 vcc_lo, 31, v17
	v_cndmask_b32_e32 v14, 0x7c00, v14, vcc_lo
	v_cmp_eq_u32_e32 vcc_lo, 0x40f, v15
	v_cndmask_b32_e32 v6, v16, v6, vcc_lo
	v_cmp_eq_u32_e32 vcc_lo, 0x40f, v17
	v_and_or_b32 v6, 0x8000, v7, v6
	v_cndmask_b32_e32 v12, v14, v12, vcc_lo
	v_and_or_b32 v12, 0x8000, v13, v12
	v_and_b32_e32 v13, 0xffff, v6
	v_add_co_u32 v6, vcc_lo, v10, s6
	v_add_co_ci_u32_e32 v7, vcc_lo, s3, v11, vcc_lo
	v_lshl_or_b32 v10, v12, 16, v13
	global_store_dword v[6:7], v10, off
	global_load_dword v12, v[0:1], off offset:1472
	ds_read2_b32 v[10:11], v5 offset0:112 offset1:192
	s_waitcnt lgkmcnt(0)
	v_lshrrev_b32_e32 v5, 16, v10
	s_waitcnt vmcnt(0)
	v_mul_f16_sdwa v13, v5, v12 dst_sel:DWORD dst_unused:UNUSED_PAD src0_sel:DWORD src1_sel:WORD_1
	v_mul_f16_sdwa v14, v10, v12 dst_sel:DWORD dst_unused:UNUSED_PAD src0_sel:DWORD src1_sel:WORD_1
	v_fmac_f16_e32 v13, v10, v12
	v_fma_f16 v5, v12, v5, -v14
	v_cvt_f32_f16_e32 v10, v13
	v_cvt_f32_f16_e32 v5, v5
	v_cvt_f64_f32_e32 v[12:13], v10
	v_cvt_f64_f32_e32 v[14:15], v5
	v_mul_f64 v[12:13], v[12:13], s[8:9]
	v_mul_f64 v[14:15], v[14:15], s[8:9]
	v_and_or_b32 v5, 0x1ff, v13, v12
	v_and_or_b32 v14, 0x1ff, v15, v14
	v_lshrrev_b32_e32 v10, 8, v13
	v_bfe_u32 v12, v13, 20, 11
	v_lshrrev_b32_e32 v16, 8, v15
	v_cmp_ne_u32_e32 vcc_lo, 0, v5
	v_bfe_u32 v17, v15, 20, 11
	v_lshrrev_b32_e32 v13, 16, v13
	v_sub_nc_u32_e32 v18, 0x3f1, v12
	v_add_nc_u32_e32 v12, 0xfffffc10, v12
	v_cndmask_b32_e64 v5, 0, 1, vcc_lo
	v_cmp_ne_u32_e32 vcc_lo, 0, v14
	v_and_or_b32 v5, 0xffe, v10, v5
	v_cndmask_b32_e64 v14, 0, 1, vcc_lo
	v_sub_nc_u32_e32 v10, 0x3f1, v17
	v_add_nc_u32_e32 v17, 0xfffffc10, v17
	v_and_or_b32 v14, 0xffe, v16, v14
	v_med3_i32 v16, v18, 0, 13
	v_or_b32_e32 v18, 0x1000, v5
	v_med3_i32 v10, v10, 0, 13
	v_or_b32_e32 v19, 0x1000, v14
	v_lshrrev_b32_e32 v20, v16, v18
	v_lshrrev_b32_e32 v21, v10, v19
	v_lshlrev_b32_e32 v16, v16, v20
	v_lshlrev_b32_e32 v10, v10, v21
	v_cmp_ne_u32_e32 vcc_lo, v16, v18
	v_lshl_or_b32 v18, v12, 12, v5
	v_cndmask_b32_e64 v16, 0, 1, vcc_lo
	v_cmp_ne_u32_e32 vcc_lo, v10, v19
	v_lshl_or_b32 v19, v17, 12, v14
	v_or_b32_e32 v16, v20, v16
	v_cndmask_b32_e64 v10, 0, 1, vcc_lo
	v_cmp_gt_i32_e32 vcc_lo, 1, v12
	v_or_b32_e32 v10, v21, v10
	v_cndmask_b32_e32 v16, v18, v16, vcc_lo
	v_cmp_gt_i32_e32 vcc_lo, 1, v17
	v_and_b32_e32 v18, 7, v16
	v_cndmask_b32_e32 v10, v19, v10, vcc_lo
	v_cmp_ne_u32_e32 vcc_lo, 0, v5
	v_lshrrev_b32_e32 v16, 2, v16
	v_cmp_eq_u32_e64 s0, 3, v18
	v_and_b32_e32 v19, 7, v10
	v_cndmask_b32_e64 v5, 0, 1, vcc_lo
	v_cmp_ne_u32_e32 vcc_lo, 0, v14
	v_lshrrev_b32_e32 v10, 2, v10
	v_cmp_lt_i32_e64 s1, 5, v19
	v_cmp_eq_u32_e64 s2, 3, v19
	v_cndmask_b32_e64 v14, 0, 1, vcc_lo
	v_cmp_lt_i32_e32 vcc_lo, 5, v18
	v_lshl_or_b32 v5, v5, 9, 0x7c00
	v_lshl_or_b32 v14, v14, 9, 0x7c00
	s_or_b32 vcc_lo, s0, vcc_lo
	v_add_co_ci_u32_e32 v16, vcc_lo, 0, v16, vcc_lo
	s_or_b32 vcc_lo, s2, s1
	v_add_co_ci_u32_e32 v10, vcc_lo, 0, v10, vcc_lo
	v_cmp_gt_i32_e32 vcc_lo, 31, v12
	v_cndmask_b32_e32 v16, 0x7c00, v16, vcc_lo
	v_cmp_gt_i32_e32 vcc_lo, 31, v17
	v_cndmask_b32_e32 v10, 0x7c00, v10, vcc_lo
	v_cmp_eq_u32_e32 vcc_lo, 0x40f, v12
	v_lshrrev_b32_e32 v12, 16, v15
	v_cndmask_b32_e32 v5, v16, v5, vcc_lo
	v_cmp_eq_u32_e32 vcc_lo, 0x40f, v17
	v_and_or_b32 v5, 0x8000, v13, v5
	v_cndmask_b32_e32 v10, v10, v14, vcc_lo
	v_and_or_b32 v10, 0x8000, v12, v10
	v_and_b32_e32 v12, 0xffff, v5
	v_add_co_u32 v5, vcc_lo, v6, s6
	v_add_co_ci_u32_e32 v6, vcc_lo, s3, v7, vcc_lo
	v_lshl_or_b32 v7, v10, 16, v12
	global_store_dword v[5:6], v7, off
	global_load_dword v0, v[0:1], off offset:1792
	v_lshrrev_b32_e32 v1, 16, v11
	s_waitcnt vmcnt(0)
	v_mul_f16_sdwa v7, v1, v0 dst_sel:DWORD dst_unused:UNUSED_PAD src0_sel:DWORD src1_sel:WORD_1
	v_mul_f16_sdwa v10, v11, v0 dst_sel:DWORD dst_unused:UNUSED_PAD src0_sel:DWORD src1_sel:WORD_1
	v_fmac_f16_e32 v7, v11, v0
	v_fma_f16 v0, v0, v1, -v10
	v_cvt_f32_f16_e32 v1, v7
	v_cvt_f32_f16_e32 v7, v0
	v_cvt_f64_f32_e32 v[0:1], v1
	v_cvt_f64_f32_e32 v[10:11], v7
	v_mul_f64 v[0:1], v[0:1], s[8:9]
	v_mul_f64 v[10:11], v[10:11], s[8:9]
	v_and_or_b32 v0, 0x1ff, v1, v0
	v_and_or_b32 v10, 0x1ff, v11, v10
	v_lshrrev_b32_e32 v7, 8, v1
	v_bfe_u32 v12, v1, 20, 11
	v_lshrrev_b32_e32 v13, 8, v11
	v_cmp_ne_u32_e32 vcc_lo, 0, v0
	v_bfe_u32 v14, v11, 20, 11
	v_lshrrev_b32_e32 v1, 16, v1
	v_sub_nc_u32_e32 v15, 0x3f1, v12
	v_add_nc_u32_e32 v12, 0xfffffc10, v12
	v_cndmask_b32_e64 v0, 0, 1, vcc_lo
	v_cmp_ne_u32_e32 vcc_lo, 0, v10
	v_lshrrev_b32_e32 v11, 16, v11
	v_and_or_b32 v0, 0xffe, v7, v0
	v_cndmask_b32_e64 v10, 0, 1, vcc_lo
	v_sub_nc_u32_e32 v7, 0x3f1, v14
	v_add_nc_u32_e32 v14, 0xfffffc10, v14
	v_and_or_b32 v10, 0xffe, v13, v10
	v_med3_i32 v13, v15, 0, 13
	v_or_b32_e32 v15, 0x1000, v0
	v_med3_i32 v7, v7, 0, 13
	v_or_b32_e32 v16, 0x1000, v10
	v_lshrrev_b32_e32 v17, v13, v15
	v_lshrrev_b32_e32 v18, v7, v16
	v_lshlrev_b32_e32 v13, v13, v17
	v_lshlrev_b32_e32 v7, v7, v18
	v_cmp_ne_u32_e32 vcc_lo, v13, v15
	v_lshl_or_b32 v15, v12, 12, v0
	v_cndmask_b32_e64 v13, 0, 1, vcc_lo
	v_cmp_ne_u32_e32 vcc_lo, v7, v16
	v_lshl_or_b32 v16, v14, 12, v10
	v_or_b32_e32 v13, v17, v13
	v_cndmask_b32_e64 v7, 0, 1, vcc_lo
	v_cmp_gt_i32_e32 vcc_lo, 1, v12
	v_or_b32_e32 v7, v18, v7
	v_cndmask_b32_e32 v13, v15, v13, vcc_lo
	v_cmp_gt_i32_e32 vcc_lo, 1, v14
	v_and_b32_e32 v15, 7, v13
	v_cndmask_b32_e32 v7, v16, v7, vcc_lo
	v_cmp_ne_u32_e32 vcc_lo, 0, v0
	v_lshrrev_b32_e32 v13, 2, v13
	v_cmp_eq_u32_e64 s0, 3, v15
	v_and_b32_e32 v16, 7, v7
	v_cndmask_b32_e64 v0, 0, 1, vcc_lo
	v_cmp_ne_u32_e32 vcc_lo, 0, v10
	v_lshrrev_b32_e32 v7, 2, v7
	v_cmp_lt_i32_e64 s1, 5, v16
	v_cmp_eq_u32_e64 s2, 3, v16
	v_cndmask_b32_e64 v10, 0, 1, vcc_lo
	v_cmp_lt_i32_e32 vcc_lo, 5, v15
	v_lshl_or_b32 v0, v0, 9, 0x7c00
	v_lshl_or_b32 v10, v10, 9, 0x7c00
	s_or_b32 vcc_lo, s0, vcc_lo
	v_add_co_ci_u32_e32 v13, vcc_lo, 0, v13, vcc_lo
	s_or_b32 vcc_lo, s2, s1
	v_add_co_ci_u32_e32 v7, vcc_lo, 0, v7, vcc_lo
	v_cmp_gt_i32_e32 vcc_lo, 31, v12
	v_cndmask_b32_e32 v13, 0x7c00, v13, vcc_lo
	v_cmp_gt_i32_e32 vcc_lo, 31, v14
	v_cndmask_b32_e32 v7, 0x7c00, v7, vcc_lo
	v_cmp_eq_u32_e32 vcc_lo, 0x40f, v12
	v_cndmask_b32_e32 v0, v13, v0, vcc_lo
	v_cmp_eq_u32_e32 vcc_lo, 0x40f, v14
	v_and_or_b32 v0, 0x8000, v1, v0
	v_cndmask_b32_e32 v7, v7, v10, vcc_lo
	v_and_b32_e32 v10, 0xffff, v0
	v_and_or_b32 v7, 0x8000, v11, v7
	v_add_co_u32 v0, vcc_lo, v5, s6
	v_add_co_ci_u32_e32 v1, vcc_lo, s3, v6, vcc_lo
	v_add_co_u32 v5, vcc_lo, 0x1000, v8
	v_lshl_or_b32 v7, v7, 16, v10
	v_add_co_ci_u32_e32 v6, vcc_lo, 0, v9, vcc_lo
	global_store_dword v[0:1], v7, off
	global_load_dword v9, v[5:6], off offset:64
	ds_read2_b32 v[7:8], v4 offset0:16 offset1:96
	s_waitcnt lgkmcnt(0)
	v_lshrrev_b32_e32 v4, 16, v7
	s_waitcnt vmcnt(0)
	v_mul_f16_sdwa v10, v4, v9 dst_sel:DWORD dst_unused:UNUSED_PAD src0_sel:DWORD src1_sel:WORD_1
	v_mul_f16_sdwa v11, v7, v9 dst_sel:DWORD dst_unused:UNUSED_PAD src0_sel:DWORD src1_sel:WORD_1
	v_fmac_f16_e32 v10, v7, v9
	v_fma_f16 v4, v9, v4, -v11
	v_cvt_f32_f16_e32 v7, v10
	v_cvt_f32_f16_e32 v4, v4
	v_cvt_f64_f32_e32 v[9:10], v7
	v_cvt_f64_f32_e32 v[11:12], v4
	v_mul_f64 v[9:10], v[9:10], s[8:9]
	v_mul_f64 v[11:12], v[11:12], s[8:9]
	v_and_or_b32 v4, 0x1ff, v10, v9
	v_and_or_b32 v11, 0x1ff, v12, v11
	v_lshrrev_b32_e32 v7, 8, v10
	v_bfe_u32 v9, v10, 20, 11
	v_lshrrev_b32_e32 v13, 8, v12
	v_cmp_ne_u32_e32 vcc_lo, 0, v4
	v_bfe_u32 v14, v12, 20, 11
	v_lshrrev_b32_e32 v10, 16, v10
	v_sub_nc_u32_e32 v15, 0x3f1, v9
	v_add_nc_u32_e32 v9, 0xfffffc10, v9
	v_cndmask_b32_e64 v4, 0, 1, vcc_lo
	v_cmp_ne_u32_e32 vcc_lo, 0, v11
	v_and_or_b32 v4, 0xffe, v7, v4
	v_cndmask_b32_e64 v11, 0, 1, vcc_lo
	v_sub_nc_u32_e32 v7, 0x3f1, v14
	v_add_nc_u32_e32 v14, 0xfffffc10, v14
	v_and_or_b32 v11, 0xffe, v13, v11
	v_med3_i32 v13, v15, 0, 13
	v_or_b32_e32 v15, 0x1000, v4
	v_med3_i32 v7, v7, 0, 13
	v_or_b32_e32 v16, 0x1000, v11
	v_lshrrev_b32_e32 v17, v13, v15
	v_lshrrev_b32_e32 v18, v7, v16
	v_lshlrev_b32_e32 v13, v13, v17
	v_lshlrev_b32_e32 v7, v7, v18
	v_cmp_ne_u32_e32 vcc_lo, v13, v15
	v_lshl_or_b32 v15, v9, 12, v4
	v_cndmask_b32_e64 v13, 0, 1, vcc_lo
	v_cmp_ne_u32_e32 vcc_lo, v7, v16
	v_lshl_or_b32 v16, v14, 12, v11
	v_or_b32_e32 v13, v17, v13
	v_cndmask_b32_e64 v7, 0, 1, vcc_lo
	v_cmp_gt_i32_e32 vcc_lo, 1, v9
	v_or_b32_e32 v7, v18, v7
	v_cndmask_b32_e32 v13, v15, v13, vcc_lo
	v_cmp_gt_i32_e32 vcc_lo, 1, v14
	v_and_b32_e32 v15, 7, v13
	v_cndmask_b32_e32 v7, v16, v7, vcc_lo
	v_cmp_ne_u32_e32 vcc_lo, 0, v4
	v_lshrrev_b32_e32 v13, 2, v13
	v_cmp_eq_u32_e64 s0, 3, v15
	v_and_b32_e32 v16, 7, v7
	v_cndmask_b32_e64 v4, 0, 1, vcc_lo
	v_cmp_ne_u32_e32 vcc_lo, 0, v11
	v_lshrrev_b32_e32 v7, 2, v7
	v_cmp_lt_i32_e64 s1, 5, v16
	v_cmp_eq_u32_e64 s2, 3, v16
	v_cndmask_b32_e64 v11, 0, 1, vcc_lo
	v_cmp_lt_i32_e32 vcc_lo, 5, v15
	v_lshl_or_b32 v4, v4, 9, 0x7c00
	v_lshl_or_b32 v11, v11, 9, 0x7c00
	s_or_b32 vcc_lo, s0, vcc_lo
	v_add_co_ci_u32_e32 v13, vcc_lo, 0, v13, vcc_lo
	s_or_b32 vcc_lo, s2, s1
	v_add_co_ci_u32_e32 v7, vcc_lo, 0, v7, vcc_lo
	v_cmp_gt_i32_e32 vcc_lo, 31, v9
	v_cndmask_b32_e32 v13, 0x7c00, v13, vcc_lo
	v_cmp_gt_i32_e32 vcc_lo, 31, v14
	v_cndmask_b32_e32 v7, 0x7c00, v7, vcc_lo
	v_cmp_eq_u32_e32 vcc_lo, 0x40f, v9
	v_lshrrev_b32_e32 v9, 16, v12
	v_cndmask_b32_e32 v4, v13, v4, vcc_lo
	v_cmp_eq_u32_e32 vcc_lo, 0x40f, v14
	v_and_or_b32 v4, 0x8000, v10, v4
	v_cndmask_b32_e32 v7, v7, v11, vcc_lo
	v_add_co_u32 v0, vcc_lo, v0, s6
	v_add_co_ci_u32_e32 v1, vcc_lo, s3, v1, vcc_lo
	v_and_or_b32 v7, 0x8000, v9, v7
	v_and_b32_e32 v4, 0xffff, v4
	v_lshl_or_b32 v4, v7, 16, v4
	v_lshrrev_b32_e32 v7, 16, v8
	global_store_dword v[0:1], v4, off
	global_load_dword v4, v[5:6], off offset:384
	s_waitcnt vmcnt(0)
	v_mul_f16_sdwa v9, v7, v4 dst_sel:DWORD dst_unused:UNUSED_PAD src0_sel:DWORD src1_sel:WORD_1
	v_mul_f16_sdwa v10, v8, v4 dst_sel:DWORD dst_unused:UNUSED_PAD src0_sel:DWORD src1_sel:WORD_1
	v_fmac_f16_e32 v9, v8, v4
	v_fma_f16 v4, v4, v7, -v10
	v_cvt_f32_f16_e32 v7, v9
	v_cvt_f32_f16_e32 v4, v4
	v_cvt_f64_f32_e32 v[7:8], v7
	v_cvt_f64_f32_e32 v[9:10], v4
	v_mul_f64 v[7:8], v[7:8], s[8:9]
	v_mul_f64 v[9:10], v[9:10], s[8:9]
	v_and_or_b32 v4, 0x1ff, v8, v7
	v_and_or_b32 v9, 0x1ff, v10, v9
	v_lshrrev_b32_e32 v7, 8, v8
	v_bfe_u32 v11, v8, 20, 11
	v_lshrrev_b32_e32 v12, 8, v10
	v_cmp_ne_u32_e32 vcc_lo, 0, v4
	v_bfe_u32 v13, v10, 20, 11
	v_lshrrev_b32_e32 v8, 16, v8
	v_sub_nc_u32_e32 v14, 0x3f1, v11
	v_add_nc_u32_e32 v11, 0xfffffc10, v11
	v_cndmask_b32_e64 v4, 0, 1, vcc_lo
	v_cmp_ne_u32_e32 vcc_lo, 0, v9
	v_lshrrev_b32_e32 v10, 16, v10
	v_and_or_b32 v4, 0xffe, v7, v4
	v_cndmask_b32_e64 v9, 0, 1, vcc_lo
	v_sub_nc_u32_e32 v7, 0x3f1, v13
	v_add_nc_u32_e32 v13, 0xfffffc10, v13
	v_and_or_b32 v9, 0xffe, v12, v9
	v_med3_i32 v12, v14, 0, 13
	v_or_b32_e32 v14, 0x1000, v4
	v_med3_i32 v7, v7, 0, 13
	v_or_b32_e32 v15, 0x1000, v9
	v_lshrrev_b32_e32 v16, v12, v14
	v_lshrrev_b32_e32 v17, v7, v15
	v_lshlrev_b32_e32 v12, v12, v16
	v_lshlrev_b32_e32 v7, v7, v17
	v_cmp_ne_u32_e32 vcc_lo, v12, v14
	v_lshl_or_b32 v14, v11, 12, v4
	v_cndmask_b32_e64 v12, 0, 1, vcc_lo
	v_cmp_ne_u32_e32 vcc_lo, v7, v15
	v_lshl_or_b32 v15, v13, 12, v9
	v_or_b32_e32 v12, v16, v12
	v_cndmask_b32_e64 v7, 0, 1, vcc_lo
	v_cmp_gt_i32_e32 vcc_lo, 1, v11
	v_or_b32_e32 v7, v17, v7
	v_cndmask_b32_e32 v12, v14, v12, vcc_lo
	v_cmp_gt_i32_e32 vcc_lo, 1, v13
	v_and_b32_e32 v14, 7, v12
	v_cndmask_b32_e32 v7, v15, v7, vcc_lo
	v_cmp_ne_u32_e32 vcc_lo, 0, v4
	v_lshrrev_b32_e32 v12, 2, v12
	v_cmp_eq_u32_e64 s0, 3, v14
	v_and_b32_e32 v15, 7, v7
	v_cndmask_b32_e64 v4, 0, 1, vcc_lo
	v_cmp_ne_u32_e32 vcc_lo, 0, v9
	v_lshrrev_b32_e32 v7, 2, v7
	v_cmp_lt_i32_e64 s1, 5, v15
	v_cmp_eq_u32_e64 s2, 3, v15
	v_cndmask_b32_e64 v9, 0, 1, vcc_lo
	v_cmp_lt_i32_e32 vcc_lo, 5, v14
	v_lshl_or_b32 v4, v4, 9, 0x7c00
	v_lshl_or_b32 v9, v9, 9, 0x7c00
	s_or_b32 vcc_lo, s0, vcc_lo
	v_add_co_ci_u32_e32 v12, vcc_lo, 0, v12, vcc_lo
	s_or_b32 vcc_lo, s2, s1
	v_add_co_ci_u32_e32 v7, vcc_lo, 0, v7, vcc_lo
	v_cmp_gt_i32_e32 vcc_lo, 31, v11
	v_cndmask_b32_e32 v12, 0x7c00, v12, vcc_lo
	v_cmp_gt_i32_e32 vcc_lo, 31, v13
	v_cndmask_b32_e32 v7, 0x7c00, v7, vcc_lo
	v_cmp_eq_u32_e32 vcc_lo, 0x40f, v11
	v_cndmask_b32_e32 v4, v12, v4, vcc_lo
	v_cmp_eq_u32_e32 vcc_lo, 0x40f, v13
	v_and_or_b32 v4, 0x8000, v8, v4
	v_cndmask_b32_e32 v7, v7, v9, vcc_lo
	v_add_co_u32 v0, vcc_lo, v0, s6
	v_add_co_ci_u32_e32 v1, vcc_lo, s3, v1, vcc_lo
	v_and_or_b32 v7, 0x8000, v10, v7
	v_and_b32_e32 v4, 0xffff, v4
	v_lshl_or_b32 v4, v7, 16, v4
	global_store_dword v[0:1], v4, off
	global_load_dword v6, v[5:6], off offset:704
	v_add_nc_u32_e32 v4, 0x1200, v53
	ds_read2_b32 v[4:5], v4 offset0:48 offset1:128
	s_waitcnt lgkmcnt(0)
	v_lshrrev_b32_e32 v7, 16, v4
	s_waitcnt vmcnt(0)
	v_mul_f16_sdwa v8, v7, v6 dst_sel:DWORD dst_unused:UNUSED_PAD src0_sel:DWORD src1_sel:WORD_1
	v_mul_f16_sdwa v9, v4, v6 dst_sel:DWORD dst_unused:UNUSED_PAD src0_sel:DWORD src1_sel:WORD_1
	v_fmac_f16_e32 v8, v4, v6
	v_fma_f16 v4, v6, v7, -v9
	v_cvt_f32_f16_e32 v6, v8
	v_cvt_f32_f16_e32 v4, v4
	v_cvt_f64_f32_e32 v[6:7], v6
	v_cvt_f64_f32_e32 v[8:9], v4
	v_mul_f64 v[6:7], v[6:7], s[8:9]
	v_mul_f64 v[8:9], v[8:9], s[8:9]
	v_and_or_b32 v4, 0x1ff, v7, v6
	v_and_or_b32 v8, 0x1ff, v9, v8
	v_lshrrev_b32_e32 v6, 8, v7
	v_bfe_u32 v10, v7, 20, 11
	v_lshrrev_b32_e32 v11, 8, v9
	v_cmp_ne_u32_e32 vcc_lo, 0, v4
	v_bfe_u32 v12, v9, 20, 11
	v_lshrrev_b32_e32 v7, 16, v7
	v_sub_nc_u32_e32 v13, 0x3f1, v10
	v_add_nc_u32_e32 v10, 0xfffffc10, v10
	v_cndmask_b32_e64 v4, 0, 1, vcc_lo
	v_cmp_ne_u32_e32 vcc_lo, 0, v8
	v_lshrrev_b32_e32 v9, 16, v9
	v_and_or_b32 v4, 0xffe, v6, v4
	v_cndmask_b32_e64 v8, 0, 1, vcc_lo
	v_sub_nc_u32_e32 v6, 0x3f1, v12
	v_add_nc_u32_e32 v12, 0xfffffc10, v12
	v_and_or_b32 v8, 0xffe, v11, v8
	v_med3_i32 v11, v13, 0, 13
	v_or_b32_e32 v13, 0x1000, v4
	v_med3_i32 v6, v6, 0, 13
	v_or_b32_e32 v14, 0x1000, v8
	v_lshrrev_b32_e32 v15, v11, v13
	v_lshrrev_b32_e32 v16, v6, v14
	v_lshlrev_b32_e32 v11, v11, v15
	v_lshlrev_b32_e32 v6, v6, v16
	v_cmp_ne_u32_e32 vcc_lo, v11, v13
	v_lshl_or_b32 v13, v10, 12, v4
	v_cndmask_b32_e64 v11, 0, 1, vcc_lo
	v_cmp_ne_u32_e32 vcc_lo, v6, v14
	v_lshl_or_b32 v14, v12, 12, v8
	v_or_b32_e32 v11, v15, v11
	v_cndmask_b32_e64 v6, 0, 1, vcc_lo
	v_cmp_gt_i32_e32 vcc_lo, 1, v10
	v_or_b32_e32 v6, v16, v6
	v_cndmask_b32_e32 v11, v13, v11, vcc_lo
	v_cmp_gt_i32_e32 vcc_lo, 1, v12
	v_and_b32_e32 v13, 7, v11
	v_cndmask_b32_e32 v6, v14, v6, vcc_lo
	v_cmp_ne_u32_e32 vcc_lo, 0, v4
	v_lshrrev_b32_e32 v11, 2, v11
	v_cmp_eq_u32_e64 s0, 3, v13
	v_and_b32_e32 v14, 7, v6
	v_cndmask_b32_e64 v4, 0, 1, vcc_lo
	v_cmp_ne_u32_e32 vcc_lo, 0, v8
	v_lshrrev_b32_e32 v6, 2, v6
	v_cmp_lt_i32_e64 s1, 5, v14
	v_cmp_eq_u32_e64 s2, 3, v14
	v_cndmask_b32_e64 v8, 0, 1, vcc_lo
	v_cmp_lt_i32_e32 vcc_lo, 5, v13
	v_lshl_or_b32 v4, v4, 9, 0x7c00
	v_lshl_or_b32 v8, v8, 9, 0x7c00
	s_or_b32 vcc_lo, s0, vcc_lo
	v_add_co_ci_u32_e32 v11, vcc_lo, 0, v11, vcc_lo
	s_or_b32 vcc_lo, s2, s1
	v_add_co_ci_u32_e32 v6, vcc_lo, 0, v6, vcc_lo
	v_cmp_gt_i32_e32 vcc_lo, 31, v10
	v_cndmask_b32_e32 v11, 0x7c00, v11, vcc_lo
	v_cmp_gt_i32_e32 vcc_lo, 31, v12
	v_cndmask_b32_e32 v6, 0x7c00, v6, vcc_lo
	v_cmp_eq_u32_e32 vcc_lo, 0x40f, v10
	v_cndmask_b32_e32 v4, v11, v4, vcc_lo
	v_cmp_eq_u32_e32 vcc_lo, 0x40f, v12
	v_and_or_b32 v4, 0x8000, v7, v4
	v_cndmask_b32_e32 v6, v6, v8, vcc_lo
	v_add_co_u32 v0, vcc_lo, v0, s6
	v_add_co_ci_u32_e32 v1, vcc_lo, s3, v1, vcc_lo
	v_and_or_b32 v6, 0x8000, v9, v6
	v_and_b32_e32 v4, 0xffff, v4
	v_lshl_or_b32 v4, v6, 16, v4
	v_lshlrev_b32_e32 v6, 2, v48
	global_store_dword v[0:1], v4, off
	global_load_dword v0, v6, s[12:13]
	v_lshrrev_b32_e32 v1, 16, v5
	s_waitcnt vmcnt(0)
	v_mul_f16_sdwa v4, v1, v0 dst_sel:DWORD dst_unused:UNUSED_PAD src0_sel:DWORD src1_sel:WORD_1
	v_mul_f16_sdwa v6, v5, v0 dst_sel:DWORD dst_unused:UNUSED_PAD src0_sel:DWORD src1_sel:WORD_1
	v_fmac_f16_e32 v4, v5, v0
	v_fma_f16 v0, v0, v1, -v6
	v_cvt_f32_f16_e32 v1, v4
	v_cvt_f32_f16_e32 v4, v0
	v_cvt_f64_f32_e32 v[0:1], v1
	v_cvt_f64_f32_e32 v[4:5], v4
	v_mul_f64 v[0:1], v[0:1], s[8:9]
	v_mul_f64 v[4:5], v[4:5], s[8:9]
	v_and_or_b32 v0, 0x1ff, v1, v0
	v_and_or_b32 v4, 0x1ff, v5, v4
	v_lshrrev_b32_e32 v6, 8, v1
	v_bfe_u32 v8, v1, 20, 11
	v_bfe_u32 v9, v5, 20, 11
	v_cmp_ne_u32_e32 vcc_lo, 0, v0
	v_lshrrev_b32_e32 v7, 8, v5
	v_lshrrev_b32_e32 v5, 16, v5
	v_sub_nc_u32_e32 v10, 0x3f1, v8
	v_sub_nc_u32_e32 v11, 0x3f1, v9
	v_cndmask_b32_e64 v0, 0, 1, vcc_lo
	v_cmp_ne_u32_e32 vcc_lo, 0, v4
	v_add_nc_u32_e32 v9, 0xfffffc10, v9
	v_and_or_b32 v12, 0xffe, v6, v0
	v_cndmask_b32_e64 v4, 0, 1, vcc_lo
	v_med3_i32 v0, v10, 0, 13
	v_med3_i32 v10, v11, 0, 13
	v_or_b32_e32 v11, 0x1000, v12
	v_and_or_b32 v4, 0xffe, v7, v4
	v_mad_u64_u32 v[6:7], null, s4, v48, 0
	v_lshrrev_b32_e32 v14, v0, v11
	v_or_b32_e32 v13, 0x1000, v4
	v_lshlrev_b32_e32 v16, v0, v14
	v_lshrrev_b32_e32 v15, v10, v13
	v_mov_b32_e32 v0, v7
	v_cmp_ne_u32_e32 vcc_lo, v16, v11
	v_lshlrev_b32_e32 v7, v10, v15
	v_add_nc_u32_e32 v10, 0xfffffc10, v8
	v_cndmask_b32_e64 v11, 0, 1, vcc_lo
	v_cmp_ne_u32_e32 vcc_lo, v7, v13
	v_mad_u64_u32 v[7:8], null, s5, v48, v[0:1]
	v_lshl_or_b32 v0, v10, 12, v12
	v_or_b32_e32 v8, v14, v11
	v_cndmask_b32_e64 v13, 0, 1, vcc_lo
	v_cmp_gt_i32_e32 vcc_lo, 1, v10
	v_lshl_or_b32 v11, v9, 12, v4
	v_lshrrev_b32_e32 v1, 16, v1
	v_or_b32_e32 v13, v15, v13
	v_cndmask_b32_e32 v0, v0, v8, vcc_lo
	v_cmp_gt_i32_e32 vcc_lo, 1, v9
	v_cndmask_b32_e32 v8, v11, v13, vcc_lo
	v_cmp_ne_u32_e32 vcc_lo, 0, v12
	v_and_b32_e32 v12, 7, v0
	v_lshrrev_b32_e32 v0, 2, v0
	v_and_b32_e32 v13, 7, v8
	v_cndmask_b32_e64 v11, 0, 1, vcc_lo
	v_cmp_ne_u32_e32 vcc_lo, 0, v4
	v_cmp_eq_u32_e64 s0, 3, v12
	v_lshrrev_b32_e32 v8, 2, v8
	v_cmp_lt_i32_e64 s1, 5, v13
	v_cmp_eq_u32_e64 s2, 3, v13
	v_cndmask_b32_e64 v4, 0, 1, vcc_lo
	v_cmp_lt_i32_e32 vcc_lo, 5, v12
	v_lshl_or_b32 v11, v11, 9, 0x7c00
	v_lshl_or_b32 v4, v4, 9, 0x7c00
	s_or_b32 vcc_lo, s0, vcc_lo
	v_add_co_ci_u32_e32 v0, vcc_lo, 0, v0, vcc_lo
	s_or_b32 vcc_lo, s2, s1
	v_add_co_ci_u32_e32 v8, vcc_lo, 0, v8, vcc_lo
	v_cmp_gt_i32_e32 vcc_lo, 31, v10
	v_cndmask_b32_e32 v0, 0x7c00, v0, vcc_lo
	v_cmp_gt_i32_e32 vcc_lo, 31, v9
	v_cndmask_b32_e32 v8, 0x7c00, v8, vcc_lo
	v_cmp_eq_u32_e32 vcc_lo, 0x40f, v10
	v_cndmask_b32_e32 v0, v0, v11, vcc_lo
	v_cmp_eq_u32_e32 vcc_lo, 0x40f, v9
	v_and_or_b32 v0, 0x8000, v1, v0
	v_cndmask_b32_e32 v4, v8, v4, vcc_lo
	v_and_or_b32 v4, 0x8000, v5, v4
	v_and_b32_e32 v5, 0xffff, v0
	v_lshlrev_b64 v[0:1], 2, v[6:7]
	v_lshl_or_b32 v4, v4, 16, v5
	v_add_co_u32 v0, vcc_lo, v2, v0
	v_add_co_ci_u32_e32 v1, vcc_lo, v3, v1, vcc_lo
	global_store_dword v[0:1], v4, off
.LBB0_23:
	s_endpgm
	.section	.rodata,"a",@progbits
	.p2align	6, 0x0
	.amdhsa_kernel bluestein_single_back_len1360_dim1_half_op_CI_CI
		.amdhsa_group_segment_fixed_size 16320
		.amdhsa_private_segment_fixed_size 0
		.amdhsa_kernarg_size 104
		.amdhsa_user_sgpr_count 6
		.amdhsa_user_sgpr_private_segment_buffer 1
		.amdhsa_user_sgpr_dispatch_ptr 0
		.amdhsa_user_sgpr_queue_ptr 0
		.amdhsa_user_sgpr_kernarg_segment_ptr 1
		.amdhsa_user_sgpr_dispatch_id 0
		.amdhsa_user_sgpr_flat_scratch_init 0
		.amdhsa_user_sgpr_private_segment_size 0
		.amdhsa_wavefront_size32 1
		.amdhsa_uses_dynamic_stack 0
		.amdhsa_system_sgpr_private_segment_wavefront_offset 0
		.amdhsa_system_sgpr_workgroup_id_x 1
		.amdhsa_system_sgpr_workgroup_id_y 0
		.amdhsa_system_sgpr_workgroup_id_z 0
		.amdhsa_system_sgpr_workgroup_info 0
		.amdhsa_system_vgpr_workitem_id 0
		.amdhsa_next_free_vgpr 254
		.amdhsa_next_free_sgpr 16
		.amdhsa_reserve_vcc 1
		.amdhsa_reserve_flat_scratch 0
		.amdhsa_float_round_mode_32 0
		.amdhsa_float_round_mode_16_64 0
		.amdhsa_float_denorm_mode_32 3
		.amdhsa_float_denorm_mode_16_64 3
		.amdhsa_dx10_clamp 1
		.amdhsa_ieee_mode 1
		.amdhsa_fp16_overflow 0
		.amdhsa_workgroup_processor_mode 1
		.amdhsa_memory_ordered 1
		.amdhsa_forward_progress 0
		.amdhsa_shared_vgpr_count 0
		.amdhsa_exception_fp_ieee_invalid_op 0
		.amdhsa_exception_fp_denorm_src 0
		.amdhsa_exception_fp_ieee_div_zero 0
		.amdhsa_exception_fp_ieee_overflow 0
		.amdhsa_exception_fp_ieee_underflow 0
		.amdhsa_exception_fp_ieee_inexact 0
		.amdhsa_exception_int_div_zero 0
	.end_amdhsa_kernel
	.text
.Lfunc_end0:
	.size	bluestein_single_back_len1360_dim1_half_op_CI_CI, .Lfunc_end0-bluestein_single_back_len1360_dim1_half_op_CI_CI
                                        ; -- End function
	.section	.AMDGPU.csdata,"",@progbits
; Kernel info:
; codeLenInByte = 32400
; NumSgprs: 18
; NumVgprs: 254
; ScratchSize: 0
; MemoryBound: 0
; FloatMode: 240
; IeeeMode: 1
; LDSByteSize: 16320 bytes/workgroup (compile time only)
; SGPRBlocks: 2
; VGPRBlocks: 31
; NumSGPRsForWavesPerEU: 18
; NumVGPRsForWavesPerEU: 254
; Occupancy: 4
; WaveLimiterHint : 1
; COMPUTE_PGM_RSRC2:SCRATCH_EN: 0
; COMPUTE_PGM_RSRC2:USER_SGPR: 6
; COMPUTE_PGM_RSRC2:TRAP_HANDLER: 0
; COMPUTE_PGM_RSRC2:TGID_X_EN: 1
; COMPUTE_PGM_RSRC2:TGID_Y_EN: 0
; COMPUTE_PGM_RSRC2:TGID_Z_EN: 0
; COMPUTE_PGM_RSRC2:TIDIG_COMP_CNT: 0
	.text
	.p2alignl 6, 3214868480
	.fill 48, 4, 3214868480
	.type	__hip_cuid_f840b9bd4119e441,@object ; @__hip_cuid_f840b9bd4119e441
	.section	.bss,"aw",@nobits
	.globl	__hip_cuid_f840b9bd4119e441
__hip_cuid_f840b9bd4119e441:
	.byte	0                               ; 0x0
	.size	__hip_cuid_f840b9bd4119e441, 1

	.ident	"AMD clang version 19.0.0git (https://github.com/RadeonOpenCompute/llvm-project roc-6.4.0 25133 c7fe45cf4b819c5991fe208aaa96edf142730f1d)"
	.section	".note.GNU-stack","",@progbits
	.addrsig
	.addrsig_sym __hip_cuid_f840b9bd4119e441
	.amdgpu_metadata
---
amdhsa.kernels:
  - .args:
      - .actual_access:  read_only
        .address_space:  global
        .offset:         0
        .size:           8
        .value_kind:     global_buffer
      - .actual_access:  read_only
        .address_space:  global
        .offset:         8
        .size:           8
        .value_kind:     global_buffer
      - .actual_access:  read_only
        .address_space:  global
        .offset:         16
        .size:           8
        .value_kind:     global_buffer
      - .actual_access:  read_only
        .address_space:  global
        .offset:         24
        .size:           8
        .value_kind:     global_buffer
      - .actual_access:  read_only
        .address_space:  global
        .offset:         32
        .size:           8
        .value_kind:     global_buffer
      - .offset:         40
        .size:           8
        .value_kind:     by_value
      - .address_space:  global
        .offset:         48
        .size:           8
        .value_kind:     global_buffer
      - .address_space:  global
        .offset:         56
        .size:           8
        .value_kind:     global_buffer
      - .address_space:  global
        .offset:         64
        .size:           8
        .value_kind:     global_buffer
      - .address_space:  global
        .offset:         72
        .size:           8
        .value_kind:     global_buffer
      - .offset:         80
        .size:           4
        .value_kind:     by_value
      - .address_space:  global
        .offset:         88
        .size:           8
        .value_kind:     global_buffer
      - .address_space:  global
        .offset:         96
        .size:           8
        .value_kind:     global_buffer
    .group_segment_fixed_size: 16320
    .kernarg_segment_align: 8
    .kernarg_segment_size: 104
    .language:       OpenCL C
    .language_version:
      - 2
      - 0
    .max_flat_workgroup_size: 255
    .name:           bluestein_single_back_len1360_dim1_half_op_CI_CI
    .private_segment_fixed_size: 0
    .sgpr_count:     18
    .sgpr_spill_count: 0
    .symbol:         bluestein_single_back_len1360_dim1_half_op_CI_CI.kd
    .uniform_work_group_size: 1
    .uses_dynamic_stack: false
    .vgpr_count:     254
    .vgpr_spill_count: 0
    .wavefront_size: 32
    .workgroup_processor_mode: 1
amdhsa.target:   amdgcn-amd-amdhsa--gfx1030
amdhsa.version:
  - 1
  - 2
...

	.end_amdgpu_metadata
